;; amdgpu-corpus repo=ROCm/rocFFT kind=compiled arch=gfx1030 opt=O3
	.text
	.amdgcn_target "amdgcn-amd-amdhsa--gfx1030"
	.amdhsa_code_object_version 6
	.protected	fft_rtc_back_len1156_factors_17_2_17_2_wgs_204_tpt_68_halfLds_dp_op_CI_CI_sbrr_dirReg ; -- Begin function fft_rtc_back_len1156_factors_17_2_17_2_wgs_204_tpt_68_halfLds_dp_op_CI_CI_sbrr_dirReg
	.globl	fft_rtc_back_len1156_factors_17_2_17_2_wgs_204_tpt_68_halfLds_dp_op_CI_CI_sbrr_dirReg
	.p2align	8
	.type	fft_rtc_back_len1156_factors_17_2_17_2_wgs_204_tpt_68_halfLds_dp_op_CI_CI_sbrr_dirReg,@function
fft_rtc_back_len1156_factors_17_2_17_2_wgs_204_tpt_68_halfLds_dp_op_CI_CI_sbrr_dirReg: ; @fft_rtc_back_len1156_factors_17_2_17_2_wgs_204_tpt_68_halfLds_dp_op_CI_CI_sbrr_dirReg
; %bb.0:
	s_clause 0x1
	s_load_dwordx4 s[16:19], s[4:5], 0x18
	s_load_dwordx4 s[8:11], s[4:5], 0x0
	v_mul_u32_u24_e32 v1, 0x3c4, v0
	v_mov_b32_e32 v4, 0
	v_mov_b32_e32 v5, 0
	s_load_dwordx4 s[12:15], s[4:5], 0x58
	s_waitcnt lgkmcnt(0)
	s_load_dwordx2 s[20:21], s[16:17], 0x0
	s_load_dwordx2 s[2:3], s[18:19], 0x0
	v_lshrrev_b32_e32 v2, 16, v1
	v_mov_b32_e32 v1, 0
	v_cmp_lt_u64_e64 s0, s[10:11], 2
	v_mov_b32_e32 v87, v5
	v_mov_b32_e32 v86, v4
	v_mad_u64_u32 v[68:69], null, s6, 3, v[2:3]
	v_mov_b32_e32 v69, v1
	s_and_b32 vcc_lo, exec_lo, s0
	v_mov_b32_e32 v91, v69
	v_mov_b32_e32 v90, v68
	s_cbranch_vccnz .LBB0_8
; %bb.1:
	s_load_dwordx2 s[0:1], s[4:5], 0x10
	v_mov_b32_e32 v4, 0
	v_mov_b32_e32 v5, 0
	s_add_u32 s6, s18, 8
	v_mov_b32_e32 v6, v68
	s_addc_u32 s7, s19, 0
	v_mov_b32_e32 v7, v69
	v_mov_b32_e32 v87, v5
	s_add_u32 s22, s16, 8
	v_mov_b32_e32 v86, v4
	s_addc_u32 s23, s17, 0
	s_mov_b64 s[26:27], 1
	s_waitcnt lgkmcnt(0)
	s_add_u32 s24, s0, 8
	s_addc_u32 s25, s1, 0
.LBB0_2:                                ; =>This Inner Loop Header: Depth=1
	s_load_dwordx2 s[28:29], s[24:25], 0x0
                                        ; implicit-def: $vgpr90_vgpr91
	s_mov_b32 s0, exec_lo
	s_waitcnt lgkmcnt(0)
	v_or_b32_e32 v2, s29, v7
	v_cmpx_ne_u64_e32 0, v[1:2]
	s_xor_b32 s1, exec_lo, s0
	s_cbranch_execz .LBB0_4
; %bb.3:                                ;   in Loop: Header=BB0_2 Depth=1
	v_cvt_f32_u32_e32 v2, s28
	v_cvt_f32_u32_e32 v3, s29
	s_sub_u32 s0, 0, s28
	s_subb_u32 s30, 0, s29
	v_fmac_f32_e32 v2, 0x4f800000, v3
	v_rcp_f32_e32 v2, v2
	v_mul_f32_e32 v2, 0x5f7ffffc, v2
	v_mul_f32_e32 v3, 0x2f800000, v2
	v_trunc_f32_e32 v3, v3
	v_fmac_f32_e32 v2, 0xcf800000, v3
	v_cvt_u32_f32_e32 v3, v3
	v_cvt_u32_f32_e32 v2, v2
	v_mul_lo_u32 v8, s0, v3
	v_mul_hi_u32 v9, s0, v2
	v_mul_lo_u32 v10, s30, v2
	v_add_nc_u32_e32 v8, v9, v8
	v_mul_lo_u32 v9, s0, v2
	v_add_nc_u32_e32 v8, v8, v10
	v_mul_hi_u32 v10, v2, v9
	v_mul_lo_u32 v11, v2, v8
	v_mul_hi_u32 v12, v2, v8
	v_mul_hi_u32 v13, v3, v9
	v_mul_lo_u32 v9, v3, v9
	v_mul_hi_u32 v14, v3, v8
	v_mul_lo_u32 v8, v3, v8
	v_add_co_u32 v10, vcc_lo, v10, v11
	v_add_co_ci_u32_e32 v11, vcc_lo, 0, v12, vcc_lo
	v_add_co_u32 v9, vcc_lo, v10, v9
	v_add_co_ci_u32_e32 v9, vcc_lo, v11, v13, vcc_lo
	v_add_co_ci_u32_e32 v10, vcc_lo, 0, v14, vcc_lo
	v_add_co_u32 v8, vcc_lo, v9, v8
	v_add_co_ci_u32_e32 v9, vcc_lo, 0, v10, vcc_lo
	v_add_co_u32 v2, vcc_lo, v2, v8
	v_add_co_ci_u32_e32 v3, vcc_lo, v3, v9, vcc_lo
	v_mul_hi_u32 v8, s0, v2
	v_mul_lo_u32 v10, s30, v2
	v_mul_lo_u32 v9, s0, v3
	v_add_nc_u32_e32 v8, v8, v9
	v_mul_lo_u32 v9, s0, v2
	v_add_nc_u32_e32 v8, v8, v10
	v_mul_hi_u32 v10, v2, v9
	v_mul_lo_u32 v11, v2, v8
	v_mul_hi_u32 v12, v2, v8
	v_mul_hi_u32 v13, v3, v9
	v_mul_lo_u32 v9, v3, v9
	v_mul_hi_u32 v14, v3, v8
	v_mul_lo_u32 v8, v3, v8
	v_add_co_u32 v10, vcc_lo, v10, v11
	v_add_co_ci_u32_e32 v11, vcc_lo, 0, v12, vcc_lo
	v_add_co_u32 v9, vcc_lo, v10, v9
	v_add_co_ci_u32_e32 v9, vcc_lo, v11, v13, vcc_lo
	v_add_co_ci_u32_e32 v10, vcc_lo, 0, v14, vcc_lo
	v_add_co_u32 v8, vcc_lo, v9, v8
	v_add_co_ci_u32_e32 v9, vcc_lo, 0, v10, vcc_lo
	v_add_co_u32 v8, vcc_lo, v2, v8
	v_add_co_ci_u32_e32 v10, vcc_lo, v3, v9, vcc_lo
	v_mul_hi_u32 v12, v6, v8
	v_mad_u64_u32 v[8:9], null, v7, v8, 0
	v_mad_u64_u32 v[2:3], null, v6, v10, 0
	v_mad_u64_u32 v[10:11], null, v7, v10, 0
	v_add_co_u32 v2, vcc_lo, v12, v2
	v_add_co_ci_u32_e32 v3, vcc_lo, 0, v3, vcc_lo
	v_add_co_u32 v2, vcc_lo, v2, v8
	v_add_co_ci_u32_e32 v2, vcc_lo, v3, v9, vcc_lo
	v_add_co_ci_u32_e32 v3, vcc_lo, 0, v11, vcc_lo
	v_add_co_u32 v8, vcc_lo, v2, v10
	v_add_co_ci_u32_e32 v9, vcc_lo, 0, v3, vcc_lo
	v_mul_lo_u32 v10, s29, v8
	v_mad_u64_u32 v[2:3], null, s28, v8, 0
	v_mul_lo_u32 v11, s28, v9
	v_sub_co_u32 v2, vcc_lo, v6, v2
	v_add3_u32 v3, v3, v11, v10
	v_sub_nc_u32_e32 v10, v7, v3
	v_subrev_co_ci_u32_e64 v10, s0, s29, v10, vcc_lo
	v_add_co_u32 v11, s0, v8, 2
	v_add_co_ci_u32_e64 v12, s0, 0, v9, s0
	v_sub_co_u32 v13, s0, v2, s28
	v_sub_co_ci_u32_e32 v3, vcc_lo, v7, v3, vcc_lo
	v_subrev_co_ci_u32_e64 v10, s0, 0, v10, s0
	v_cmp_le_u32_e32 vcc_lo, s28, v13
	v_cmp_eq_u32_e64 s0, s29, v3
	v_cndmask_b32_e64 v13, 0, -1, vcc_lo
	v_cmp_le_u32_e32 vcc_lo, s29, v10
	v_cndmask_b32_e64 v14, 0, -1, vcc_lo
	v_cmp_le_u32_e32 vcc_lo, s28, v2
	;; [unrolled: 2-line block ×3, first 2 shown]
	v_cndmask_b32_e64 v15, 0, -1, vcc_lo
	v_cmp_eq_u32_e32 vcc_lo, s29, v10
	v_cndmask_b32_e64 v2, v15, v2, s0
	v_cndmask_b32_e32 v10, v14, v13, vcc_lo
	v_add_co_u32 v13, vcc_lo, v8, 1
	v_add_co_ci_u32_e32 v14, vcc_lo, 0, v9, vcc_lo
	v_cmp_ne_u32_e32 vcc_lo, 0, v10
	v_cndmask_b32_e32 v3, v14, v12, vcc_lo
	v_cndmask_b32_e32 v10, v13, v11, vcc_lo
	v_cmp_ne_u32_e32 vcc_lo, 0, v2
	v_cndmask_b32_e32 v91, v9, v3, vcc_lo
	v_cndmask_b32_e32 v90, v8, v10, vcc_lo
.LBB0_4:                                ;   in Loop: Header=BB0_2 Depth=1
	s_andn2_saveexec_b32 s0, s1
	s_cbranch_execz .LBB0_6
; %bb.5:                                ;   in Loop: Header=BB0_2 Depth=1
	v_cvt_f32_u32_e32 v2, s28
	s_sub_i32 s1, 0, s28
	v_mov_b32_e32 v91, v1
	v_rcp_iflag_f32_e32 v2, v2
	v_mul_f32_e32 v2, 0x4f7ffffe, v2
	v_cvt_u32_f32_e32 v2, v2
	v_mul_lo_u32 v3, s1, v2
	v_mul_hi_u32 v3, v2, v3
	v_add_nc_u32_e32 v2, v2, v3
	v_mul_hi_u32 v2, v6, v2
	v_mul_lo_u32 v3, v2, s28
	v_add_nc_u32_e32 v8, 1, v2
	v_sub_nc_u32_e32 v3, v6, v3
	v_subrev_nc_u32_e32 v9, s28, v3
	v_cmp_le_u32_e32 vcc_lo, s28, v3
	v_cndmask_b32_e32 v3, v3, v9, vcc_lo
	v_cndmask_b32_e32 v2, v2, v8, vcc_lo
	v_cmp_le_u32_e32 vcc_lo, s28, v3
	v_add_nc_u32_e32 v8, 1, v2
	v_cndmask_b32_e32 v90, v2, v8, vcc_lo
.LBB0_6:                                ;   in Loop: Header=BB0_2 Depth=1
	s_or_b32 exec_lo, exec_lo, s0
	v_mul_lo_u32 v8, v91, s28
	v_mul_lo_u32 v9, v90, s29
	s_load_dwordx2 s[0:1], s[22:23], 0x0
	v_mad_u64_u32 v[2:3], null, v90, s28, 0
	s_load_dwordx2 s[28:29], s[6:7], 0x0
	s_add_u32 s26, s26, 1
	s_addc_u32 s27, s27, 0
	s_add_u32 s6, s6, 8
	s_addc_u32 s7, s7, 0
	s_add_u32 s22, s22, 8
	v_add3_u32 v3, v3, v9, v8
	v_sub_co_u32 v2, vcc_lo, v6, v2
	s_addc_u32 s23, s23, 0
	s_add_u32 s24, s24, 8
	v_sub_co_ci_u32_e32 v3, vcc_lo, v7, v3, vcc_lo
	s_addc_u32 s25, s25, 0
	s_waitcnt lgkmcnt(0)
	v_mul_lo_u32 v6, s0, v3
	v_mul_lo_u32 v7, s1, v2
	v_mad_u64_u32 v[4:5], null, s0, v2, v[4:5]
	v_mul_lo_u32 v3, s28, v3
	v_mul_lo_u32 v8, s29, v2
	v_mad_u64_u32 v[86:87], null, s28, v2, v[86:87]
	v_cmp_ge_u64_e64 s0, s[26:27], s[10:11]
	v_add3_u32 v5, v7, v5, v6
	v_add3_u32 v87, v8, v87, v3
	s_and_b32 vcc_lo, exec_lo, s0
	s_cbranch_vccnz .LBB0_8
; %bb.7:                                ;   in Loop: Header=BB0_2 Depth=1
	v_mov_b32_e32 v6, v90
	v_mov_b32_e32 v7, v91
	s_branch .LBB0_2
.LBB0_8:
	s_load_dwordx2 s[0:1], s[4:5], 0x28
	v_mul_hi_u32 v1, 0x3c3c3c4, v0
	s_lshl_b64 s[6:7], s[10:11], 3
                                        ; implicit-def: $vgpr84
                                        ; implicit-def: $vgpr92
                                        ; implicit-def: $vgpr93
                                        ; implicit-def: $vgpr94
                                        ; implicit-def: $vgpr95
                                        ; implicit-def: $vgpr96
                                        ; implicit-def: $vgpr98
                                        ; implicit-def: $vgpr88
                                        ; implicit-def: $vgpr85
	s_add_u32 s4, s18, s6
	s_addc_u32 s5, s19, s7
	s_waitcnt lgkmcnt(0)
	v_cmp_gt_u64_e32 vcc_lo, s[0:1], v[90:91]
	v_cmp_le_u64_e64 s0, s[0:1], v[90:91]
	s_and_saveexec_b32 s1, s0
	s_xor_b32 s0, exec_lo, s1
; %bb.9:
	v_mul_u32_u24_e32 v1, 0x44, v1
                                        ; implicit-def: $vgpr4_vgpr5
	v_sub_nc_u32_e32 v84, v0, v1
                                        ; implicit-def: $vgpr1
                                        ; implicit-def: $vgpr0
	v_add_nc_u32_e32 v92, 0x44, v84
	v_add_nc_u32_e32 v93, 0x88, v84
	v_add_nc_u32_e32 v94, 0xcc, v84
	v_add_nc_u32_e32 v95, 0x110, v84
	v_add_nc_u32_e32 v96, 0x154, v84
	v_add_nc_u32_e32 v98, 0x198, v84
	v_add_nc_u32_e32 v88, 0x1dc, v84
	v_add_nc_u32_e32 v85, 0x220, v84
; %bb.10:
	s_or_saveexec_b32 s1, s0
                                        ; implicit-def: $vgpr6_vgpr7
                                        ; implicit-def: $vgpr14_vgpr15
                                        ; implicit-def: $vgpr22_vgpr23
                                        ; implicit-def: $vgpr30_vgpr31
                                        ; implicit-def: $vgpr38_vgpr39
                                        ; implicit-def: $vgpr46_vgpr47
                                        ; implicit-def: $vgpr54_vgpr55
                                        ; implicit-def: $vgpr62_vgpr63
                                        ; implicit-def: $vgpr66_vgpr67
                                        ; implicit-def: $vgpr58_vgpr59
                                        ; implicit-def: $vgpr50_vgpr51
                                        ; implicit-def: $vgpr42_vgpr43
                                        ; implicit-def: $vgpr34_vgpr35
                                        ; implicit-def: $vgpr26_vgpr27
                                        ; implicit-def: $vgpr18_vgpr19
                                        ; implicit-def: $vgpr10_vgpr11
                                        ; implicit-def: $vgpr2_vgpr3
	s_xor_b32 exec_lo, exec_lo, s1
	s_cbranch_execz .LBB0_12
; %bb.11:
	s_add_u32 s6, s16, s6
	s_addc_u32 s7, s17, s7
	v_mul_u32_u24_e32 v1, 0x44, v1
	s_load_dwordx2 s[6:7], s[6:7], 0x0
	v_lshlrev_b64 v[2:3], 4, v[4:5]
	v_sub_nc_u32_e32 v84, v0, v1
	v_add_nc_u32_e32 v92, 0x44, v84
	v_mad_u64_u32 v[0:1], null, s20, v84, 0
	v_add_nc_u32_e32 v93, 0x88, v84
	v_add_nc_u32_e32 v94, 0xcc, v84
	v_mad_u64_u32 v[4:5], null, s20, v92, 0
	v_add_nc_u32_e32 v95, 0x110, v84
	v_mad_u64_u32 v[6:7], null, s20, v93, 0
	v_mad_u64_u32 v[10:11], null, s21, v84, v[1:2]
	s_waitcnt lgkmcnt(0)
	v_mul_lo_u32 v13, s7, v90
	v_mul_lo_u32 v14, s6, v91
	v_mad_u64_u32 v[8:9], null, s6, v90, 0
	v_mov_b32_e32 v1, v5
	v_mad_u64_u32 v[11:12], null, s20, v94, 0
	v_mov_b32_e32 v5, v7
	v_add_nc_u32_e32 v96, 0x154, v84
	v_add_nc_u32_e32 v98, 0x198, v84
	v_add3_u32 v9, v9, v14, v13
	v_mad_u64_u32 v[13:14], null, s21, v92, v[1:2]
	v_mov_b32_e32 v1, v10
	v_mad_u64_u32 v[14:15], null, s20, v95, 0
	v_lshlrev_b64 v[7:8], 4, v[8:9]
	v_mad_u64_u32 v[9:10], null, s21, v93, v[5:6]
	v_mov_b32_e32 v10, v12
	v_mov_b32_e32 v5, v13
	v_lshlrev_b64 v[0:1], 4, v[0:1]
	v_add_co_u32 v12, s0, s12, v7
	v_add_co_ci_u32_e64 v8, s0, s13, v8, s0
	v_mov_b32_e32 v7, v9
	v_add_co_u32 v34, s0, v12, v2
	v_add_co_ci_u32_e64 v35, s0, v8, v3, s0
	v_lshlrev_b64 v[2:3], 4, v[4:5]
	v_add_co_u32 v0, s0, v34, v0
	v_add_co_ci_u32_e64 v1, s0, v35, v1, s0
	v_mad_u64_u32 v[4:5], null, s21, v94, v[10:11]
	v_add_co_u32 v8, s0, v34, v2
	v_add_co_ci_u32_e64 v9, s0, v35, v3, s0
	v_lshlrev_b64 v[2:3], 4, v[6:7]
	v_mad_u64_u32 v[6:7], null, s20, v96, 0
	v_mov_b32_e32 v5, v15
	v_mov_b32_e32 v12, v4
	v_add_nc_u32_e32 v88, 0x1dc, v84
	v_add_co_u32 v16, s0, v34, v2
	v_add_co_ci_u32_e64 v17, s0, v35, v3, s0
	v_mad_u64_u32 v[4:5], null, s21, v95, v[5:6]
	v_mov_b32_e32 v5, v7
	v_lshlrev_b64 v[2:3], 4, v[11:12]
	v_mad_u64_u32 v[10:11], null, s20, v98, 0
	v_add_nc_u32_e32 v85, 0x220, v84
	v_add_nc_u32_e32 v18, 0x264, v84
	v_mov_b32_e32 v15, v4
	v_mad_u64_u32 v[4:5], null, s21, v96, v[5:6]
	v_add_co_u32 v12, s0, v34, v2
	v_add_co_ci_u32_e64 v13, s0, v35, v3, s0
	v_lshlrev_b64 v[2:3], 4, v[14:15]
	v_mov_b32_e32 v5, v11
	v_mov_b32_e32 v7, v4
	v_mad_u64_u32 v[14:15], null, s20, v88, 0
	v_add_nc_u32_e32 v24, 0x2a8, v84
	v_mad_u64_u32 v[4:5], null, s21, v98, v[5:6]
	v_add_co_u32 v20, s0, v34, v2
	v_add_co_ci_u32_e64 v21, s0, v35, v3, s0
	v_lshlrev_b64 v[2:3], 4, v[6:7]
	v_mad_u64_u32 v[6:7], null, s20, v85, 0
	v_mov_b32_e32 v5, v15
	v_mov_b32_e32 v11, v4
	v_add_nc_u32_e32 v27, 0x2ec, v84
	v_add_co_u32 v22, s0, v34, v2
	v_add_co_ci_u32_e64 v23, s0, v35, v3, s0
	v_mad_u64_u32 v[4:5], null, s21, v88, v[5:6]
	v_lshlrev_b64 v[2:3], 4, v[10:11]
	v_mad_u64_u32 v[10:11], null, s20, v18, 0
	v_mov_b32_e32 v5, v7
	v_add_nc_u32_e32 v30, 0x330, v84
	v_add_nc_u32_e32 v32, 0x3b8, v84
	v_mov_b32_e32 v15, v4
	v_add_co_u32 v28, s0, v34, v2
	v_mad_u64_u32 v[4:5], null, s21, v85, v[5:6]
	v_mov_b32_e32 v2, v11
	v_add_co_ci_u32_e64 v29, s0, v35, v3, s0
	v_lshlrev_b64 v[14:15], 4, v[14:15]
	v_add_nc_u32_e32 v40, 0x3fc, v84
	v_mad_u64_u32 v[2:3], null, s21, v18, v[2:3]
	v_mov_b32_e32 v7, v4
	v_mad_u64_u32 v[3:4], null, s20, v24, 0
	v_mad_u64_u32 v[18:19], null, s20, v27, 0
	v_lshlrev_b64 v[5:6], 4, v[6:7]
	v_mov_b32_e32 v11, v2
	v_add_co_u32 v14, s0, v34, v14
	v_mov_b32_e32 v2, v4
	v_add_co_ci_u32_e64 v15, s0, v35, v15, s0
	v_lshlrev_b64 v[10:11], 4, v[10:11]
	v_add_co_u32 v5, s0, v34, v5
	v_mad_u64_u32 v[24:25], null, s21, v24, v[2:3]
	v_mad_u64_u32 v[25:26], null, s20, v30, 0
	v_mov_b32_e32 v2, v19
	v_add_co_ci_u32_e64 v6, s0, v35, v6, s0
	v_add_co_u32 v36, s0, v34, v10
	v_mov_b32_e32 v4, v24
	v_mov_b32_e32 v7, v26
	v_mad_u64_u32 v[26:27], null, s21, v27, v[2:3]
	v_add_nc_u32_e32 v27, 0x374, v84
	v_lshlrev_b64 v[2:3], 4, v[3:4]
	v_mad_u64_u32 v[30:31], null, s21, v30, v[7:8]
	v_add_co_ci_u32_e64 v37, s0, v35, v11, s0
	v_mov_b32_e32 v19, v26
	v_mad_u64_u32 v[10:11], null, s20, v27, 0
	v_add_co_u32 v38, s0, v34, v2
	v_mov_b32_e32 v26, v30
	v_mad_u64_u32 v[30:31], null, s20, v32, 0
	v_add_co_ci_u32_e64 v39, s0, v35, v3, s0
	v_lshlrev_b64 v[2:3], 4, v[18:19]
	v_lshlrev_b64 v[18:19], 4, v[25:26]
	v_mad_u64_u32 v[24:25], null, s20, v40, 0
	v_mov_b32_e32 v7, v31
	v_add_nc_u32_e32 v41, 0x440, v84
	v_mov_b32_e32 v4, v11
	v_add_co_u32 v44, s0, v34, v2
	v_mad_u64_u32 v[31:32], null, s21, v32, v[7:8]
	v_mad_u64_u32 v[32:33], null, s20, v41, 0
	;; [unrolled: 1-line block ×3, first 2 shown]
	v_mov_b32_e32 v4, v25
	v_add_co_ci_u32_e64 v45, s0, v35, v3, s0
	v_add_co_u32 v69, s0, v34, v18
	v_mad_u64_u32 v[2:3], null, s21, v40, v[4:5]
	v_mov_b32_e32 v3, v33
	v_mov_b32_e32 v11, v26
	v_add_co_ci_u32_e64 v70, s0, v35, v19, s0
	v_lshlrev_b64 v[18:19], 4, v[30:31]
	v_mad_u64_u32 v[3:4], null, s21, v41, v[3:4]
	v_lshlrev_b64 v[10:11], 4, v[10:11]
	v_mov_b32_e32 v25, v2
	v_add_co_u32 v30, s0, v34, v10
	v_mov_b32_e32 v33, v3
	v_add_co_ci_u32_e64 v31, s0, v35, v11, s0
	v_lshlrev_b64 v[10:11], 4, v[24:25]
	v_add_co_u32 v71, s0, v34, v18
	v_add_co_ci_u32_e64 v72, s0, v35, v19, s0
	v_lshlrev_b64 v[18:19], 4, v[32:33]
	v_add_co_u32 v73, s0, v34, v10
	v_add_co_ci_u32_e64 v74, s0, v35, v11, s0
	s_clause 0x1
	global_load_dwordx4 v[0:3], v[0:1], off
	global_load_dwordx4 v[8:11], v[8:9], off
	v_add_co_u32 v75, s0, v34, v18
	v_add_co_ci_u32_e64 v76, s0, v35, v19, s0
	s_clause 0xe
	global_load_dwordx4 v[16:19], v[16:17], off
	global_load_dwordx4 v[24:27], v[12:13], off
	;; [unrolled: 1-line block ×15, first 2 shown]
.LBB0_12:
	s_or_b32 exec_lo, exec_lo, s1
	s_waitcnt vmcnt(0)
	v_add_f64 v[71:72], v[10:11], -v[6:7]
	s_mov_b32 s24, 0xeb564b22
	s_mov_b32 s22, 0x923c349f
	;; [unrolled: 1-line block ×4, first 2 shown]
	v_add_f64 v[69:70], v[4:5], v[8:9]
	v_add_f64 v[75:76], v[18:19], -v[14:15]
	s_mov_b32 s28, 0x2a9d6da3
	s_mov_b32 s6, 0x3259b75e
	;; [unrolled: 1-line block ×12, first 2 shown]
	v_add_f64 v[73:74], v[12:13], v[16:17]
	v_add_f64 v[79:80], v[26:27], -v[22:23]
	s_mov_b32 s38, 0x7c9e640b
	v_mul_f64 v[103:104], v[71:72], s[24:25]
	v_mul_f64 v[105:106], v[71:72], s[22:23]
	;; [unrolled: 1-line block ×3, first 2 shown]
	s_mov_b32 s39, 0xbfeca52d
	s_mov_b32 s10, 0x75d4884
	v_mul_f64 v[99:100], v[71:72], s[38:39]
	v_mul_f64 v[129:130], v[75:76], s[20:21]
	;; [unrolled: 1-line block ×3, first 2 shown]
	s_mov_b32 s18, 0x6c9a05f6
	s_mov_b32 s26, 0x7faef3
	;; [unrolled: 1-line block ×9, first 2 shown]
	v_add_f64 v[77:78], v[20:21], v[24:25]
	v_add_f64 v[101:102], v[34:35], -v[30:31]
	v_mul_f64 v[123:124], v[71:72], s[18:19]
	v_mul_f64 v[107:108], v[75:76], s[24:25]
	;; [unrolled: 1-line block ×3, first 2 shown]
	v_fma_f64 v[131:132], v[69:70], s[6:7], v[103:104]
	v_fma_f64 v[133:134], v[69:70], s[30:31], v[105:106]
	;; [unrolled: 1-line block ×3, first 2 shown]
	v_add_f64 v[155:156], v[8:9], v[0:1]
	s_mov_b32 s12, 0x2b2883cd
	s_mov_b32 s13, 0x3fdc86fa
	v_fma_f64 v[151:152], v[73:74], s[26:27], v[129:130]
	v_fma_f64 v[153:154], v[73:74], s[34:35], v[127:128]
	v_mul_f64 v[125:126], v[71:72], s[42:43]
	v_mul_f64 v[109:110], v[75:76], s[18:19]
	v_fma_f64 v[117:118], v[69:70], s[12:13], v[99:100]
	s_mov_b32 s16, 0x6ed5f1bb
	s_mov_b32 s17, 0xbfe348c8
	;; [unrolled: 1-line block ×4, first 2 shown]
	v_mul_f64 v[111:112], v[79:80], s[18:19]
	v_mul_f64 v[135:136], v[75:76], s[48:49]
	;; [unrolled: 1-line block ×3, first 2 shown]
	s_mov_b32 s45, 0x3fc7851a
	v_fma_f64 v[139:140], v[69:70], s[16:17], v[123:124]
	v_fma_f64 v[143:144], v[73:74], s[6:7], v[107:108]
	s_mov_b32 s37, 0x3feca52d
	v_add_f64 v[131:132], v[0:1], v[131:132]
	v_add_f64 v[133:134], v[0:1], v[133:134]
	;; [unrolled: 1-line block ×5, first 2 shown]
	s_mov_b32 s44, s20
	s_mov_b32 s36, s38
	v_mul_f64 v[115:116], v[79:80], s[44:45]
	v_mul_f64 v[137:138], v[75:76], s[36:37]
	v_fma_f64 v[141:142], v[69:70], s[34:35], v[125:126]
	v_fma_f64 v[147:148], v[73:74], s[16:17], v[109:110]
	v_add_f64 v[149:150], v[0:1], v[117:118]
	s_mov_b32 s52, 0x5d8e7cdc
	s_mov_b32 s53, 0xbfd71e95
	;; [unrolled: 1-line block ×4, first 2 shown]
	v_add_f64 v[117:118], v[42:43], -v[38:39]
	v_mul_f64 v[157:158], v[79:80], s[52:53]
	v_fma_f64 v[161:162], v[73:74], s[30:31], v[135:136]
	v_fma_f64 v[165:166], v[77:78], s[16:17], v[111:112]
	v_add_f64 v[139:140], v[0:1], v[139:140]
	v_mul_f64 v[169:170], v[101:102], s[46:47]
	v_add_f64 v[131:132], v[151:152], v[131:132]
	v_fma_f64 v[151:152], v[77:78], s[10:11], v[121:122]
	v_add_f64 v[133:134], v[153:154], v[133:134]
	v_mul_f64 v[153:154], v[101:102], s[38:39]
	v_add_f64 v[143:144], v[143:144], v[145:146]
	v_mul_f64 v[145:146], v[101:102], s[20:21]
	v_fma_f64 v[171:172], v[77:78], s[30:31], v[119:120]
	v_add_f64 v[155:156], v[24:25], v[155:156]
	v_mul_f64 v[159:160], v[79:80], s[24:25]
	v_fma_f64 v[163:164], v[73:74], s[12:13], v[137:138]
	v_add_f64 v[141:142], v[0:1], v[141:142]
	v_fma_f64 v[167:168], v[77:78], s[26:27], v[115:116]
	v_add_f64 v[147:148], v[147:148], v[149:150]
	v_mul_f64 v[149:150], v[101:102], s[48:49]
	s_mov_b32 s50, 0x370991
	s_mov_b32 s51, 0x3fedd6d0
	v_add_f64 v[173:174], v[36:37], v[40:41]
	v_mul_f64 v[175:176], v[101:102], s[42:43]
	v_fma_f64 v[177:178], v[77:78], s[50:51], v[157:158]
	v_mul_f64 v[183:184], v[117:118], s[38:39]
	v_add_f64 v[139:140], v[161:162], v[139:140]
	v_mul_f64 v[185:186], v[117:118], s[20:21]
	s_mov_b32 s59, 0x3fe9895b
	s_mov_b32 s58, s18
	v_add_f64 v[133:134], v[151:152], v[133:134]
	v_fma_f64 v[151:152], v[113:114], s[12:13], v[153:154]
	v_add_f64 v[143:144], v[165:166], v[143:144]
	v_fma_f64 v[165:166], v[113:114], s[26:27], v[145:146]
	;; [unrolled: 2-line block ×3, first 2 shown]
	v_fma_f64 v[179:180], v[77:78], s[6:7], v[159:160]
	v_mul_f64 v[181:182], v[117:118], s[40:41]
	v_add_f64 v[141:142], v[163:164], v[141:142]
	v_mul_f64 v[163:164], v[101:102], s[58:59]
	v_add_f64 v[147:148], v[167:168], v[147:148]
	v_fma_f64 v[167:168], v[113:114], s[30:31], v[149:150]
	s_mov_b32 s55, 0x3fefdd0d
	s_mov_b32 s54, s24
	v_mul_f64 v[161:162], v[117:118], s[56:57]
	v_add_f64 v[187:188], v[50:51], -v[46:47]
	v_fma_f64 v[189:190], v[113:114], s[34:35], v[175:176]
	v_add_f64 v[195:196], v[44:45], v[48:49]
	v_add_f64 v[139:140], v[177:178], v[139:140]
	v_fma_f64 v[177:178], v[173:174], s[26:27], v[185:186]
	v_add_f64 v[201:202], v[58:59], -v[54:55]
	v_add_f64 v[211:212], v[52:53], v[56:57]
	v_mul_f64 v[227:228], v[79:80], s[42:43]
	v_add_f64 v[133:134], v[151:152], v[133:134]
	v_add_f64 v[151:152], v[32:33], v[155:156]
	;; [unrolled: 1-line block ×3, first 2 shown]
	v_mul_f64 v[165:166], v[71:72], s[20:21]
	v_add_f64 v[131:132], v[171:172], v[131:132]
	v_fma_f64 v[155:156], v[173:174], s[12:13], v[183:184]
	v_mul_f64 v[171:172], v[117:118], s[54:55]
	v_add_f64 v[141:142], v[179:180], v[141:142]
	v_fma_f64 v[193:194], v[113:114], s[16:17], v[163:164]
	;; [unrolled: 3-line block ×3, first 2 shown]
	v_mul_f64 v[71:72], v[71:72], s[52:53]
	v_fma_f64 v[191:192], v[173:174], s[34:35], v[161:162]
	v_mul_f64 v[197:198], v[187:188], s[48:49]
	v_mul_f64 v[199:200], v[187:188], s[52:53]
	;; [unrolled: 1-line block ×3, first 2 shown]
	v_add_f64 v[139:140], v[189:190], v[139:140]
	v_mul_f64 v[189:190], v[75:76], s[46:47]
	v_mul_f64 v[213:214], v[201:202], s[36:37]
	v_mul_hi_u32 v83, 0xaaaaaaab, v68
	v_mul_f64 v[217:218], v[201:202], s[24:25]
	v_add_f64 v[133:134], v[177:178], v[133:134]
	v_add_f64 v[151:152], v[40:41], v[151:152]
	v_mul_f64 v[177:178], v[187:188], s[28:29]
	v_fma_f64 v[207:208], v[69:70], s[26:27], v[165:166]
	v_fma_f64 v[165:166], v[69:70], s[26:27], -v[165:166]
	v_add_f64 v[131:132], v[155:156], v[131:132]
	v_fma_f64 v[155:156], v[173:174], s[6:7], v[171:172]
	v_lshrrev_b32_e32 v83, 1, v83
	v_add_f64 v[141:142], v[193:194], v[141:142]
	v_mul_f64 v[193:194], v[187:188], s[20:21]
	v_mul_f64 v[221:222], v[201:202], s[58:59]
	v_add_f64 v[147:148], v[167:168], v[147:148]
	v_fma_f64 v[167:168], v[173:174], s[50:51], v[179:180]
	v_add_f64 v[143:144], v[191:192], v[143:144]
	v_fma_f64 v[191:192], v[195:196], s[30:31], v[197:198]
	v_fma_f64 v[209:210], v[195:196], s[50:51], v[199:200]
	v_lshl_add_u32 v83, v83, 1, v83
	v_fma_f64 v[215:216], v[195:196], s[34:35], v[203:204]
	v_fma_f64 v[225:226], v[73:74], s[50:51], v[189:190]
	v_fma_f64 v[189:190], v[73:74], s[50:51], -v[189:190]
	v_mul_f64 v[229:230], v[101:102], s[40:41]
	v_fma_f64 v[123:124], v[69:70], s[16:17], -v[123:124]
	v_fma_f64 v[125:126], v[69:70], s[34:35], -v[125:126]
	v_add_f64 v[151:152], v[48:49], v[151:152]
	v_sub_nc_u32_e32 v89, v68, v83
	v_add_f64 v[207:208], v[0:1], v[207:208]
	v_add_f64 v[165:166], v[0:1], v[165:166]
	v_mul_f64 v[75:76], v[75:76], s[28:29]
	v_add_f64 v[139:140], v[155:156], v[139:140]
	v_fma_f64 v[155:156], v[195:196], s[10:11], v[177:178]
	v_fma_f64 v[103:104], v[69:70], s[6:7], -v[103:104]
	v_fma_f64 v[105:106], v[69:70], s[30:31], -v[105:106]
	;; [unrolled: 1-line block ×4, first 2 shown]
	v_add_f64 v[141:142], v[167:168], v[141:142]
	v_fma_f64 v[167:168], v[195:196], s[26:27], v[193:194]
	v_add_f64 v[143:144], v[191:192], v[143:144]
	v_fma_f64 v[191:192], v[211:212], s[12:13], v[213:214]
	;; [unrolled: 2-line block ×4, first 2 shown]
	v_fma_f64 v[135:136], v[73:74], s[30:31], -v[135:136]
	v_add_f64 v[123:124], v[0:1], v[123:124]
	v_add_f64 v[125:126], v[0:1], v[125:126]
	;; [unrolled: 1-line block ×3, first 2 shown]
	v_fma_f64 v[137:138], v[73:74], s[12:13], -v[137:138]
	v_add_f64 v[207:208], v[225:226], v[207:208]
	v_fma_f64 v[225:226], v[77:78], s[34:35], v[227:228]
	v_add_f64 v[165:166], v[189:190], v[165:166]
	v_mul_f64 v[79:80], v[79:80], s[38:39]
	v_add_f64 v[139:140], v[155:156], v[139:140]
	v_fma_f64 v[155:156], v[69:70], s[50:51], v[71:72]
	v_fma_f64 v[68:69], v[69:70], s[50:51], -v[71:72]
	v_fma_f64 v[129:130], v[73:74], s[26:27], -v[129:130]
	v_add_f64 v[103:104], v[0:1], v[103:104]
	v_fma_f64 v[127:128], v[73:74], s[34:35], -v[127:128]
	v_add_f64 v[141:142], v[167:168], v[141:142]
	;; [unrolled: 2-line block ×3, first 2 shown]
	v_fma_f64 v[191:192], v[113:114], s[10:11], v[229:230]
	v_add_f64 v[105:106], v[0:1], v[105:106]
	v_add_f64 v[81:82], v[0:1], v[81:82]
	v_fma_f64 v[107:108], v[73:74], s[6:7], -v[107:108]
	v_add_f64 v[99:100], v[0:1], v[99:100]
	v_fma_f64 v[109:110], v[73:74], s[16:17], -v[109:110]
	v_add_f64 v[147:148], v[209:210], v[147:148]
	v_add_f64 v[151:152], v[64:65], v[151:152]
	v_mul_f64 v[209:210], v[201:202], s[20:21]
	v_add_f64 v[131:132], v[215:216], v[131:132]
	v_add_f64 v[189:190], v[225:226], v[207:208]
	v_mul_f64 v[207:208], v[117:118], s[18:19]
	v_mul_f64 v[215:216], v[187:188], s[36:37]
	v_add_f64 v[123:124], v[135:136], v[123:124]
	v_add_f64 v[70:71], v[0:1], v[155:156]
	v_fma_f64 v[155:156], v[73:74], s[10:11], v[75:76]
	v_fma_f64 v[72:73], v[73:74], s[10:11], -v[75:76]
	v_add_f64 v[0:1], v[0:1], v[68:69]
	v_fma_f64 v[135:136], v[77:78], s[50:51], -v[157:158]
	v_add_f64 v[68:69], v[137:138], v[125:126]
	v_add_f64 v[165:166], v[167:168], v[165:166]
	v_fma_f64 v[167:168], v[113:114], s[10:11], -v[229:230]
	v_fma_f64 v[74:75], v[77:78], s[6:7], -v[159:160]
	v_fma_f64 v[125:126], v[77:78], s[12:13], v[79:80]
	v_add_f64 v[103:104], v[129:130], v[103:104]
	v_fma_f64 v[119:120], v[77:78], s[30:31], -v[119:120]
	v_mul_f64 v[101:102], v[101:102], s[24:25]
	v_add_f64 v[105:106], v[127:128], v[105:106]
	v_fma_f64 v[121:122], v[77:78], s[10:11], -v[121:122]
	v_add_f64 v[151:152], v[60:61], v[151:152]
	v_add_f64 v[81:82], v[107:108], v[81:82]
	;; [unrolled: 1-line block ×4, first 2 shown]
	v_fma_f64 v[191:192], v[173:174], s[16:17], v[207:208]
	v_fma_f64 v[107:108], v[77:78], s[16:17], -v[111:112]
	v_fma_f64 v[109:110], v[77:78], s[26:27], -v[115:116]
	v_fma_f64 v[129:130], v[211:212], s[26:27], v[209:210]
	v_add_f64 v[70:71], v[155:156], v[70:71]
	v_fma_f64 v[137:138], v[173:174], s[16:17], -v[207:208]
	v_add_f64 v[0:1], v[72:73], v[0:1]
	v_fma_f64 v[72:73], v[77:78], s[12:13], -v[79:80]
	;; [unrolled: 2-line block ×3, first 2 shown]
	v_add_f64 v[127:128], v[167:168], v[165:166]
	v_add_f64 v[68:69], v[74:75], v[68:69]
	v_fma_f64 v[74:75], v[113:114], s[16:17], -v[163:164]
	v_mul_f64 v[117:118], v[117:118], s[22:23]
	v_add_f64 v[78:79], v[119:120], v[103:104]
	v_fma_f64 v[103:104], v[113:114], s[6:7], v[101:102]
	v_fma_f64 v[119:120], v[113:114], s[50:51], -v[169:170]
	v_add_f64 v[105:106], v[121:122], v[105:106]
	v_add_f64 v[111:112], v[52:53], v[151:152]
	v_fma_f64 v[151:152], v[195:196], s[12:13], v[215:216]
	v_fma_f64 v[121:122], v[113:114], s[12:13], -v[153:154]
	v_mul_f64 v[205:206], v[187:188], s[54:55]
	v_add_f64 v[115:116], v[191:192], v[189:190]
	v_add_f64 v[80:81], v[107:108], v[81:82]
	;; [unrolled: 1-line block ×3, first 2 shown]
	v_fma_f64 v[107:108], v[113:114], s[26:27], -v[145:146]
	v_add_f64 v[70:71], v[125:126], v[70:71]
	v_add_f64 v[125:126], v[129:130], v[139:140]
	v_fma_f64 v[129:130], v[195:196], s[12:13], -v[215:216]
	v_add_f64 v[0:1], v[72:73], v[0:1]
	v_fma_f64 v[72:73], v[113:114], s[6:7], -v[101:102]
	v_fma_f64 v[109:110], v[113:114], s[30:31], -v[149:150]
	v_add_f64 v[127:128], v[137:138], v[127:128]
	v_fma_f64 v[113:114], v[173:174], s[50:51], -v[179:180]
	v_add_f64 v[68:69], v[74:75], v[68:69]
	v_fma_f64 v[137:138], v[173:174], s[26:27], -v[185:186]
	v_mul_f64 v[139:140], v[187:188], s[18:19]
	v_add_f64 v[76:77], v[66:67], -v[62:63]
	v_add_f64 v[78:79], v[119:120], v[78:79]
	v_mul_f64 v[223:224], v[201:202], s[52:53]
	v_add_f64 v[99:100], v[44:45], v[111:112]
	v_fma_f64 v[145:146], v[195:196], s[10:11], -v[177:178]
	v_add_f64 v[105:106], v[121:122], v[105:106]
	v_fma_f64 v[121:122], v[173:174], s[12:13], -v[183:184]
	v_add_f64 v[111:112], v[151:152], v[115:116]
	v_add_f64 v[115:116], v[135:136], v[123:124]
	v_fma_f64 v[123:124], v[173:174], s[6:7], -v[171:172]
	v_add_f64 v[80:81], v[107:108], v[80:81]
	v_add_f64 v[70:71], v[103:104], v[70:71]
	v_fma_f64 v[103:104], v[173:174], s[30:31], v[117:118]
	v_fma_f64 v[117:118], v[173:174], s[30:31], -v[117:118]
	v_fma_f64 v[107:108], v[173:174], s[34:35], -v[161:162]
	v_add_f64 v[0:1], v[72:73], v[0:1]
	v_add_f64 v[82:83], v[109:110], v[82:83]
	;; [unrolled: 1-line block ×3, first 2 shown]
	v_fma_f64 v[129:130], v[173:174], s[10:11], -v[181:182]
	v_fma_f64 v[219:220], v[195:196], s[6:7], v[205:206]
	v_mul_f64 v[72:73], v[201:202], s[40:41]
	v_add_f64 v[68:69], v[113:114], v[68:69]
	v_mul_f64 v[113:114], v[201:202], s[22:23]
	v_fma_f64 v[149:150], v[195:196], s[26:27], -v[193:194]
	v_mul_f64 v[151:152], v[201:202], s[42:43]
	v_add_f64 v[99:100], v[36:37], v[99:100]
	v_fma_f64 v[153:154], v[195:196], s[34:35], -v[203:204]
	v_add_f64 v[105:106], v[137:138], v[105:106]
	v_fma_f64 v[137:138], v[195:196], s[16:17], v[139:140]
	v_fma_f64 v[139:140], v[195:196], s[16:17], -v[139:140]
	v_add_f64 v[78:79], v[121:122], v[78:79]
	v_add_f64 v[115:116], v[123:124], v[115:116]
	v_fma_f64 v[155:156], v[195:196], s[6:7], -v[205:206]
	v_fma_f64 v[157:158], v[195:196], s[50:51], -v[199:200]
	v_add_f64 v[70:71], v[103:104], v[70:71]
	v_add_f64 v[74:75], v[60:61], v[64:65]
	;; [unrolled: 1-line block ×4, first 2 shown]
	v_mul_f64 v[101:102], v[76:77], s[46:47]
	v_mul_f64 v[119:120], v[76:77], s[42:43]
	v_add_f64 v[82:83], v[129:130], v[82:83]
	v_fma_f64 v[129:130], v[195:196], s[30:31], -v[197:198]
	v_add_f64 v[133:134], v[219:220], v[133:134]
	v_fma_f64 v[219:220], v[211:212], s[50:51], v[223:224]
	v_mul_f64 v[135:136], v[76:77], s[40:41]
	v_mul_f64 v[109:110], v[76:77], s[18:19]
	v_fma_f64 v[159:160], v[211:212], s[10:11], v[72:73]
	v_add_f64 v[99:100], v[28:29], v[99:100]
	v_mul_f64 v[117:118], v[76:77], s[36:37]
	v_mul_f64 v[161:162], v[76:77], s[22:23]
	v_add_f64 v[68:69], v[149:150], v[68:69]
	v_mul_f64 v[149:150], v[76:77], s[54:55]
	v_fma_f64 v[163:164], v[211:212], s[26:27], -v[209:210]
	v_add_f64 v[115:116], v[145:146], v[115:116]
	v_fma_f64 v[145:146], v[211:212], s[30:31], v[113:114]
	v_fma_f64 v[113:114], v[211:212], s[30:31], -v[113:114]
	v_fma_f64 v[72:73], v[211:212], s[10:11], -v[72:73]
	v_add_f64 v[70:71], v[137:138], v[70:71]
	v_fma_f64 v[137:138], v[211:212], s[34:35], v[151:152]
	v_mul_f64 v[76:77], v[76:77], s[20:21]
	v_add_f64 v[0:1], v[139:140], v[0:1]
	v_fma_f64 v[139:140], v[211:212], s[34:35], -v[151:152]
	v_add_f64 v[78:79], v[153:154], v[78:79]
	v_add_f64 v[105:106], v[155:156], v[105:106]
	v_fma_f64 v[153:154], v[211:212], s[16:17], -v[221:222]
	v_fma_f64 v[155:156], v[211:212], s[50:51], -v[223:224]
	v_add_f64 v[80:81], v[129:130], v[80:81]
	v_add_f64 v[82:83], v[157:158], v[82:83]
	v_fma_f64 v[129:130], v[211:212], s[12:13], -v[213:214]
	v_add_f64 v[99:100], v[20:21], v[99:100]
	v_fma_f64 v[157:158], v[211:212], s[6:7], -v[217:218]
	v_fma_f64 v[123:124], v[74:75], s[50:51], v[101:102]
	v_fma_f64 v[103:104], v[74:75], s[34:35], v[119:120]
	v_add_f64 v[133:134], v[219:220], v[133:134]
	v_fma_f64 v[121:122], v[74:75], s[10:11], v[135:136]
	v_fma_f64 v[107:108], v[74:75], s[16:17], v[109:110]
	;; [unrolled: 1-line block ×4, first 2 shown]
	v_add_f64 v[111:112], v[145:146], v[111:112]
	v_add_f64 v[113:114], v[113:114], v[127:128]
	v_fma_f64 v[127:128], v[74:75], s[6:7], v[149:150]
	v_fma_f64 v[145:146], v[74:75], s[6:7], -v[149:150]
	v_add_f64 v[115:116], v[163:164], v[115:116]
	v_add_f64 v[68:69], v[72:73], v[68:69]
	v_fma_f64 v[72:73], v[74:75], s[12:13], -v[117:118]
	v_fma_f64 v[117:118], v[74:75], s[30:31], -v[161:162]
	v_add_f64 v[70:71], v[137:138], v[70:71]
	v_fma_f64 v[137:138], v[74:75], s[26:27], v[76:77]
	v_fma_f64 v[135:136], v[74:75], s[10:11], -v[135:136]
	v_fma_f64 v[109:110], v[74:75], s[16:17], -v[109:110]
	;; [unrolled: 1-line block ×3, first 2 shown]
	v_add_f64 v[99:100], v[12:13], v[99:100]
	v_fma_f64 v[119:120], v[74:75], s[34:35], -v[119:120]
	v_add_f64 v[0:1], v[139:140], v[0:1]
	v_fma_f64 v[74:75], v[74:75], s[26:27], -v[76:77]
	v_add_f64 v[159:160], v[159:160], v[141:142]
	v_add_f64 v[78:79], v[153:154], v[78:79]
	;; [unrolled: 1-line block ×9, first 2 shown]
	v_mul_u32_u24_e32 v89, 0x484, v89
	v_add_f64 v[124:125], v[165:166], v[125:126]
	v_add_f64 v[72:73], v[72:73], v[115:116]
	;; [unrolled: 1-line block ×6, first 2 shown]
	v_lshlrev_b32_e32 v142, 3, v89
	v_cmp_gt_u32_e64 s0, 34, v84
	v_add_f64 v[115:116], v[4:5], v[99:100]
	v_lshlrev_b32_e32 v143, 3, v85
	v_add_f64 v[99:100], v[74:75], v[0:1]
	v_add_f64 v[129:130], v[151:152], v[159:160]
	;; [unrolled: 1-line block ×6, first 2 shown]
	v_add_nc_u32_e32 v0, 0, v142
	v_lshlrev_b32_e32 v1, 3, v84
                                        ; implicit-def: $vgpr101_vgpr102
	v_mad_u32_u24 v121, 0x88, v84, v0
	v_add_nc_u32_e32 v135, v0, v1
	v_add3_u32 v89, 0, v1, v142
	v_lshl_add_u32 v139, v92, 3, v0
	v_lshl_add_u32 v140, v93, 3, v0
	;; [unrolled: 1-line block ×3, first 2 shown]
	ds_write2_b64 v121, v[76:77], v[103:104] offset0:2 offset1:3
	ds_write2_b64 v121, v[122:123], v[107:108] offset0:4 offset1:5
	;; [unrolled: 1-line block ×5, first 2 shown]
	ds_write2_b64 v121, v[115:116], v[70:71] offset1:1
	ds_write2_b64 v121, v[105:106], v[78:79] offset0:12 offset1:13
	ds_write2_b64 v121, v[82:83], v[80:81] offset0:14 offset1:15
	v_lshl_add_u32 v97, v95, 3, v0
	s_load_dwordx2 s[4:5], s[4:5], 0x0
	ds_write_b64 v121, v[99:100] offset:128
	s_waitcnt lgkmcnt(0)
	s_barrier
	buffer_gl0_inv
	v_lshl_add_u32 v136, v96, 3, v0
	v_lshl_add_u32 v137, v98, 3, v0
	;; [unrolled: 1-line block ×3, first 2 shown]
	v_add_nc_u32_e32 v123, 0x1000, v89
	v_add_nc_u32_e32 v122, 0x1400, v89
	v_add_nc_u32_e32 v128, 0x1800, v89
	v_add_nc_u32_e32 v127, 0x1c00, v89
	ds_read_b64 v[103:104], v135
	ds_read_b64 v[105:106], v139
	;; [unrolled: 1-line block ×8, first 2 shown]
	ds_read2_b64 v[80:83], v123 offset0:66 offset1:134
	ds_read2_b64 v[76:79], v122 offset0:74 offset1:142
	;; [unrolled: 1-line block ×4, first 2 shown]
	s_and_saveexec_b32 s1, s0
	s_cbranch_execz .LBB0_14
; %bb.13:
	v_add3_u32 v0, 0, v143, v142
	ds_read_b64 v[99:100], v0
	ds_read_b64 v[101:102], v89 offset:8976
.LBB0_14:
	s_or_b32 exec_lo, exec_lo, s1
	v_add_f64 v[0:1], v[10:11], v[2:3]
	v_add_f64 v[4:5], v[8:9], -v[4:5]
	v_add_f64 v[28:29], v[32:33], -v[28:29]
	;; [unrolled: 1-line block ×4, first 2 shown]
	v_add_f64 v[8:9], v[6:7], v[10:11]
	v_add_f64 v[60:61], v[64:65], -v[60:61]
	v_add_f64 v[52:53], v[56:57], -v[52:53]
	;; [unrolled: 1-line block ×4, first 2 shown]
	s_waitcnt lgkmcnt(0)
	s_barrier
	buffer_gl0_inv
	v_add_f64 v[0:1], v[18:19], v[0:1]
	v_add_f64 v[18:19], v[14:15], v[18:19]
	v_mul_f64 v[16:17], v[4:5], s[28:29]
	v_mul_f64 v[24:25], v[4:5], s[24:25]
	v_mul_f64 v[32:33], v[4:5], s[18:19]
	v_mul_f64 v[124:125], v[12:13], s[56:57]
	v_mul_f64 v[129:130], v[12:13], s[48:49]
	v_mul_f64 v[131:132], v[12:13], s[36:37]
	v_add_f64 v[0:1], v[26:27], v[0:1]
	v_add_f64 v[26:27], v[22:23], v[26:27]
	v_fma_f64 v[150:151], v[18:19], s[34:35], -v[124:125]
	v_fma_f64 v[124:125], v[18:19], s[34:35], v[124:125]
	v_fma_f64 v[152:153], v[18:19], s[30:31], -v[129:130]
	v_fma_f64 v[129:130], v[18:19], s[30:31], v[129:130]
	;; [unrolled: 2-line block ×3, first 2 shown]
	v_add_f64 v[0:1], v[34:35], v[0:1]
	v_add_f64 v[34:35], v[30:31], v[34:35]
	;; [unrolled: 1-line block ×11, first 2 shown]
	v_mul_f64 v[119:120], v[12:13], s[20:21]
	v_add_f64 v[54:55], v[54:55], v[62:63]
	v_fma_f64 v[62:63], v[8:9], s[16:17], -v[32:33]
	v_fma_f64 v[32:33], v[8:9], s[16:17], v[32:33]
	v_fma_f64 v[148:149], v[18:19], s[26:27], -v[119:120]
	v_fma_f64 v[119:120], v[18:19], s[26:27], v[119:120]
	v_add_f64 v[46:47], v[46:47], v[54:55]
	v_fma_f64 v[54:55], v[8:9], s[6:7], -v[24:25]
	v_fma_f64 v[24:25], v[8:9], s[6:7], v[24:25]
	v_add_f64 v[32:33], v[2:3], v[32:33]
	v_add_f64 v[38:39], v[38:39], v[46:47]
	v_fma_f64 v[46:47], v[8:9], s[10:11], -v[16:17]
	v_fma_f64 v[16:17], v[8:9], s[10:11], v[16:17]
	v_add_f64 v[24:25], v[2:3], v[24:25]
	v_add_f64 v[32:33], v[129:130], v[32:33]
	v_mul_f64 v[129:130], v[20:21], s[24:25]
	v_add_f64 v[30:31], v[30:31], v[38:39]
	v_mul_f64 v[38:39], v[4:5], s[42:43]
	v_add_f64 v[16:17], v[2:3], v[16:17]
	v_add_f64 v[24:25], v[119:120], v[24:25]
	v_mul_f64 v[119:120], v[20:21], s[40:41]
	v_add_f64 v[22:23], v[22:23], v[30:31]
	v_mul_f64 v[30:31], v[4:5], s[22:23]
	v_fma_f64 v[64:65], v[8:9], s[34:35], -v[38:39]
	v_fma_f64 v[38:39], v[8:9], s[34:35], v[38:39]
	v_add_f64 v[10:11], v[14:15], v[22:23]
	v_mul_f64 v[14:15], v[4:5], s[52:53]
	v_mul_f64 v[22:23], v[4:5], s[38:39]
	v_mul_f64 v[4:5], v[4:5], s[20:21]
	v_fma_f64 v[56:57], v[8:9], s[30:31], -v[30:31]
	v_fma_f64 v[30:31], v[8:9], s[30:31], v[30:31]
	v_add_f64 v[38:39], v[2:3], v[38:39]
	v_fma_f64 v[40:41], v[8:9], s[50:51], -v[14:15]
	v_fma_f64 v[14:15], v[8:9], s[50:51], v[14:15]
	v_fma_f64 v[48:49], v[8:9], s[12:13], -v[22:23]
	v_fma_f64 v[22:23], v[8:9], s[12:13], v[22:23]
	v_fma_f64 v[66:67], v[8:9], s[26:27], -v[4:5]
	v_fma_f64 v[4:5], v[8:9], s[26:27], v[4:5]
	v_add_f64 v[30:31], v[2:3], v[30:31]
	v_add_f64 v[38:39], v[131:132], v[38:39]
	;; [unrolled: 1-line block ×14, first 2 shown]
	v_mul_f64 v[6:7], v[12:13], s[28:29]
	v_mul_f64 v[10:11], v[12:13], s[24:25]
	;; [unrolled: 1-line block ×4, first 2 shown]
	v_add_f64 v[30:31], v[124:125], v[30:31]
	v_mul_f64 v[124:125], v[20:21], s[52:53]
	v_fma_f64 v[133:134], v[18:19], s[10:11], -v[6:7]
	v_fma_f64 v[6:7], v[18:19], s[10:11], v[6:7]
	v_fma_f64 v[144:145], v[18:19], s[6:7], -v[10:11]
	v_fma_f64 v[10:11], v[18:19], s[6:7], v[10:11]
	;; [unrolled: 2-line block ×4, first 2 shown]
	v_add_f64 v[8:9], v[133:134], v[8:9]
	v_add_f64 v[6:7], v[6:7], v[14:15]
	;; [unrolled: 1-line block ×11, first 2 shown]
	v_mul_f64 v[56:57], v[20:21], s[38:39]
	v_mul_f64 v[62:63], v[20:21], s[18:19]
	;; [unrolled: 1-line block ×5, first 2 shown]
	v_fma_f64 v[148:149], v[26:27], s[10:11], -v[119:120]
	v_fma_f64 v[119:120], v[26:27], s[10:11], v[119:120]
	v_fma_f64 v[150:151], v[26:27], s[50:51], -v[124:125]
	v_fma_f64 v[152:153], v[26:27], s[6:7], -v[129:130]
	v_fma_f64 v[124:125], v[26:27], s[50:51], v[124:125]
	v_fma_f64 v[129:130], v[26:27], s[6:7], v[129:130]
	v_add_f64 v[4:5], v[12:13], v[4:5]
	v_fma_f64 v[131:132], v[26:27], s[12:13], -v[56:57]
	v_fma_f64 v[56:57], v[26:27], s[12:13], v[56:57]
	v_fma_f64 v[133:134], v[26:27], s[16:17], -v[62:63]
	v_fma_f64 v[62:63], v[26:27], s[16:17], v[62:63]
	;; [unrolled: 2-line block ×5, first 2 shown]
	v_add_f64 v[26:27], v[119:120], v[30:31]
	v_add_f64 v[30:31], v[150:151], v[46:47]
	v_mul_f64 v[119:120], v[28:29], s[58:59]
	v_add_f64 v[32:33], v[124:125], v[32:33]
	v_add_f64 v[38:39], v[129:130], v[38:39]
	;; [unrolled: 1-line block ×13, first 2 shown]
	v_mul_f64 v[48:49], v[28:29], s[24:25]
	v_mul_f64 v[54:55], v[28:29], s[20:21]
	;; [unrolled: 1-line block ×7, first 2 shown]
	v_fma_f64 v[148:149], v[34:35], s[16:17], -v[119:120]
	v_fma_f64 v[119:120], v[34:35], s[16:17], v[119:120]
	v_add_f64 v[4:5], v[20:21], v[4:5]
	v_fma_f64 v[124:125], v[34:35], s[6:7], -v[48:49]
	v_fma_f64 v[48:49], v[34:35], s[6:7], v[48:49]
	v_fma_f64 v[129:130], v[34:35], s[26:27], -v[54:55]
	v_fma_f64 v[54:55], v[34:35], s[26:27], v[54:55]
	;; [unrolled: 2-line block ×7, first 2 shown]
	v_add_f64 v[34:35], v[119:120], v[38:39]
	v_add_f64 v[8:9], v[124:125], v[8:9]
	;; [unrolled: 1-line block ×3, first 2 shown]
	v_mul_f64 v[48:49], v[36:37], s[40:41]
	v_add_f64 v[10:11], v[54:55], v[10:11]
	v_mul_f64 v[54:55], v[36:37], s[38:39]
	v_add_f64 v[16:17], v[56:57], v[16:17]
	;; [unrolled: 2-line block ×3, first 2 shown]
	v_add_f64 v[22:23], v[144:145], v[24:25]
	v_add_f64 v[24:25], v[64:65], v[26:27]
	;; [unrolled: 1-line block ×6, first 2 shown]
	v_mul_f64 v[40:41], v[36:37], s[22:23]
	v_mul_f64 v[46:47], v[36:37], s[56:57]
	;; [unrolled: 1-line block ×5, first 2 shown]
	v_add_f64 v[18:19], v[133:134], v[18:19]
	v_add_f64 v[12:13], v[129:130], v[12:13]
	v_add_f64 v[14:15], v[131:132], v[14:15]
	v_add_f64 v[4:5], v[28:29], v[4:5]
	v_fma_f64 v[124:125], v[42:43], s[10:11], -v[48:49]
	v_fma_f64 v[48:49], v[42:43], s[10:11], v[48:49]
	v_fma_f64 v[129:130], v[42:43], s[12:13], -v[54:55]
	v_fma_f64 v[54:55], v[42:43], s[12:13], v[54:55]
	;; [unrolled: 2-line block ×6, first 2 shown]
	v_fma_f64 v[146:147], v[42:43], s[16:17], -v[36:37]
	v_fma_f64 v[119:120], v[42:43], s[34:35], -v[46:47]
	v_fma_f64 v[46:47], v[42:43], s[34:35], v[46:47]
	v_fma_f64 v[36:37], v[42:43], s[16:17], v[36:37]
	v_mul_f64 v[42:43], v[44:45], s[52:53]
	v_add_f64 v[16:17], v[48:49], v[16:17]
	v_mul_f64 v[48:49], v[44:45], s[54:55]
	v_add_f64 v[20:21], v[54:55], v[20:21]
	;; [unrolled: 2-line block ×4, first 2 shown]
	v_add_f64 v[18:19], v[129:130], v[18:19]
	v_add_f64 v[22:23], v[131:132], v[22:23]
	;; [unrolled: 1-line block ×4, first 2 shown]
	v_mul_f64 v[40:41], v[44:45], s[48:49]
	v_add_f64 v[28:29], v[62:63], v[30:31]
	v_add_f64 v[30:31], v[144:145], v[32:33]
	;; [unrolled: 1-line block ×4, first 2 shown]
	v_mul_f64 v[38:39], v[44:45], s[18:19]
	v_add_f64 v[10:11], v[46:47], v[10:11]
	v_mul_f64 v[46:47], v[44:45], s[42:43]
	v_mul_f64 v[44:45], v[44:45], s[36:37]
	v_fma_f64 v[66:67], v[50:51], s[50:51], -v[42:43]
	v_fma_f64 v[42:43], v[50:51], s[50:51], v[42:43]
	v_add_f64 v[12:13], v[119:120], v[12:13]
	v_fma_f64 v[124:125], v[50:51], s[6:7], -v[48:49]
	v_fma_f64 v[48:49], v[50:51], s[6:7], v[48:49]
	v_add_f64 v[26:27], v[133:134], v[26:27]
	v_fma_f64 v[129:130], v[50:51], s[10:11], -v[54:55]
	v_fma_f64 v[54:55], v[50:51], s[10:11], v[54:55]
	v_fma_f64 v[131:132], v[50:51], s[26:27], -v[56:57]
	v_fma_f64 v[56:57], v[50:51], s[26:27], v[56:57]
	v_add_f64 v[4:5], v[36:37], v[4:5]
	v_mul_f64 v[36:37], v[52:53], s[42:43]
	v_fma_f64 v[64:65], v[50:51], s[30:31], -v[40:41]
	v_fma_f64 v[40:41], v[50:51], s[30:31], v[40:41]
	v_fma_f64 v[62:63], v[50:51], s[16:17], -v[38:39]
	v_fma_f64 v[38:39], v[50:51], s[16:17], v[38:39]
	;; [unrolled: 2-line block ×4, first 2 shown]
	v_mul_f64 v[50:51], v[52:53], s[40:41]
	v_add_f64 v[16:17], v[42:43], v[16:17]
	v_mul_f64 v[42:43], v[52:53], s[58:59]
	v_add_f64 v[24:25], v[48:49], v[24:25]
	;; [unrolled: 2-line block ×3, first 2 shown]
	v_add_f64 v[28:29], v[54:55], v[28:29]
	v_add_f64 v[32:33], v[56:57], v[32:33]
	;; [unrolled: 1-line block ×3, first 2 shown]
	v_fma_f64 v[54:55], v[58:59], s[34:35], -v[36:37]
	v_fma_f64 v[36:37], v[58:59], s[34:35], v[36:37]
	v_add_f64 v[12:13], v[64:65], v[12:13]
	v_add_f64 v[10:11], v[40:41], v[10:11]
	v_mul_f64 v[40:41], v[52:53], s[24:25]
	v_add_f64 v[26:27], v[129:130], v[26:27]
	v_add_f64 v[30:31], v[131:132], v[30:31]
	;; [unrolled: 1-line block ×4, first 2 shown]
	v_mul_f64 v[38:39], v[52:53], s[36:37]
	v_add_f64 v[20:21], v[46:47], v[20:21]
	v_mul_f64 v[46:47], v[52:53], s[52:53]
	v_mul_f64 v[52:53], v[52:53], s[22:23]
	v_fma_f64 v[124:125], v[58:59], s[10:11], -v[50:51]
	v_fma_f64 v[50:51], v[58:59], s[10:11], v[50:51]
	v_fma_f64 v[64:65], v[58:59], s[16:17], -v[42:43]
	v_fma_f64 v[42:43], v[58:59], s[16:17], v[42:43]
	v_add_f64 v[18:19], v[119:120], v[18:19]
	v_fma_f64 v[119:120], v[58:59], s[26:27], -v[48:49]
	v_fma_f64 v[48:49], v[58:59], s[26:27], v[48:49]
	v_add_f64 v[4:5], v[44:45], v[4:5]
	v_mul_f64 v[44:45], v[60:61], s[36:37]
	v_add_f64 v[34:35], v[133:134], v[34:35]
	v_fma_f64 v[62:63], v[58:59], s[6:7], -v[40:41]
	v_fma_f64 v[40:41], v[58:59], s[6:7], v[40:41]
	v_add_f64 v[8:9], v[54:55], v[8:9]
	v_add_f64 v[6:7], v[36:37], v[6:7]
	v_fma_f64 v[56:57], v[58:59], s[12:13], -v[38:39]
	v_fma_f64 v[38:39], v[58:59], s[12:13], v[38:39]
	v_fma_f64 v[66:67], v[58:59], s[50:51], -v[46:47]
	v_fma_f64 v[46:47], v[58:59], s[50:51], v[46:47]
	v_fma_f64 v[129:130], v[58:59], s[30:31], -v[52:53]
	v_add_f64 v[32:33], v[50:51], v[32:33]
	v_mul_f64 v[50:51], v[60:61], s[20:21]
	v_fma_f64 v[52:53], v[58:59], s[30:31], v[52:53]
	v_mul_f64 v[36:37], v[60:61], s[46:47]
	v_add_f64 v[20:21], v[42:43], v[20:21]
	v_mul_f64 v[42:43], v[60:61], s[18:19]
	v_add_f64 v[28:29], v[48:49], v[28:29]
	;; [unrolled: 2-line block ×3, first 2 shown]
	v_add_f64 v[26:27], v[119:120], v[26:27]
	v_add_f64 v[30:31], v[124:125], v[30:31]
	;; [unrolled: 1-line block ×4, first 2 shown]
	v_mul_f64 v[40:41], v[60:61], s[40:41]
	v_add_f64 v[12:13], v[56:57], v[12:13]
	v_add_f64 v[10:11], v[38:39], v[10:11]
	v_mul_f64 v[38:39], v[60:61], s[42:43]
	v_add_f64 v[24:25], v[46:47], v[24:25]
	v_mul_f64 v[46:47], v[60:61], s[22:23]
	v_add_f64 v[22:23], v[66:67], v[22:23]
	v_fma_f64 v[66:67], v[0:1], s[26:27], -v[50:51]
	v_add_f64 v[4:5], v[52:53], v[4:5]
	v_fma_f64 v[52:53], v[0:1], s[50:51], -v[36:37]
	v_fma_f64 v[60:61], v[0:1], s[12:13], -v[44:45]
	;; [unrolled: 1-line block ×3, first 2 shown]
	v_add_f64 v[34:35], v[129:130], v[34:35]
	v_fma_f64 v[64:65], v[0:1], s[6:7], -v[48:49]
	v_fma_f64 v[48:49], v[0:1], s[6:7], v[48:49]
	v_fma_f64 v[44:45], v[0:1], s[12:13], v[44:45]
	;; [unrolled: 1-line block ×4, first 2 shown]
	v_fma_f64 v[56:57], v[0:1], s[10:11], -v[40:41]
	v_fma_f64 v[40:41], v[0:1], s[10:11], v[40:41]
	v_fma_f64 v[54:55], v[0:1], s[34:35], -v[38:39]
	v_fma_f64 v[38:39], v[0:1], s[34:35], v[38:39]
	;; [unrolled: 2-line block ×3, first 2 shown]
	v_fma_f64 v[0:1], v[0:1], s[26:27], v[50:51]
	v_add_f64 v[8:9], v[66:67], v[8:9]
	v_add_f64 v[12:13], v[52:53], v[12:13]
	;; [unrolled: 1-line block ×4, first 2 shown]
                                        ; implicit-def: $vgpr52_vgpr53
	v_add_f64 v[34:35], v[64:65], v[34:35]
	v_add_f64 v[4:5], v[48:49], v[4:5]
	v_add_f64 v[28:29], v[44:45], v[28:29]
	v_add_f64 v[24:25], v[42:43], v[24:25]
	v_add_f64 v[10:11], v[36:37], v[10:11]
	v_add_f64 v[18:19], v[56:57], v[18:19]
	v_add_f64 v[20:21], v[40:41], v[20:21]
	v_add_f64 v[14:15], v[54:55], v[14:15]
	v_add_f64 v[16:17], v[38:39], v[16:17]
	v_add_f64 v[30:31], v[62:63], v[30:31]
	v_add_f64 v[32:33], v[46:47], v[32:33]
	v_add_f64 v[119:120], v[0:1], v[6:7]
	ds_write2_b64 v121, v[2:3], v[8:9] offset1:1
	ds_write2_b64 v121, v[12:13], v[14:15] offset0:2 offset1:3
	ds_write2_b64 v121, v[18:19], v[22:23] offset0:4 offset1:5
	ds_write2_b64 v121, v[26:27], v[30:31] offset0:6 offset1:7
	ds_write2_b64 v121, v[34:35], v[4:5] offset0:8 offset1:9
	ds_write2_b64 v121, v[32:33], v[28:29] offset0:10 offset1:11
	ds_write2_b64 v121, v[24:25], v[20:21] offset0:12 offset1:13
	ds_write2_b64 v121, v[16:17], v[10:11] offset0:14 offset1:15
	ds_write_b64 v121, v[119:120] offset:128
	s_waitcnt lgkmcnt(0)
	s_barrier
	buffer_gl0_inv
	ds_read2_b64 v[0:3], v123 offset0:66 offset1:134
	ds_read2_b64 v[4:7], v122 offset0:74 offset1:142
	ds_read_b64 v[66:67], v135
	ds_read_b64 v[121:122], v139
	ds_read_b64 v[123:124], v140
	ds_read_b64 v[125:126], v141
	ds_read2_b64 v[8:11], v128 offset0:82 offset1:150
	ds_read2_b64 v[12:15], v127 offset0:90 offset1:158
	ds_read_b64 v[127:128], v97
	ds_read_b64 v[129:130], v136
	;; [unrolled: 1-line block ×4, first 2 shown]
	s_and_saveexec_b32 s1, s0
	s_cbranch_execz .LBB0_16
; %bb.15:
	v_add3_u32 v16, 0, v143, v142
	ds_read_b64 v[119:120], v16
	ds_read_b64 v[52:53], v89 offset:8976
.LBB0_16:
	s_or_b32 exec_lo, exec_lo, s1
	v_and_b32_e32 v16, 0xff, v84
	v_mov_b32_e32 v32, 0xf0f1
	v_and_b32_e32 v17, 0xff, v92
	v_and_b32_e32 v18, 0xff, v93
	v_mov_b32_e32 v33, 4
	v_mul_lo_u16 v16, 0xf1, v16
	v_mul_u32_u24_sdwa v19, v94, v32 dst_sel:DWORD dst_unused:UNUSED_PAD src0_sel:WORD_0 src1_sel:DWORD
	v_mul_lo_u16 v17, 0xf1, v17
	v_mul_lo_u16 v18, 0xf1, v18
	v_mul_u32_u24_sdwa v24, v98, v32 dst_sel:DWORD dst_unused:UNUSED_PAD src0_sel:WORD_0 src1_sel:DWORD
	v_lshrrev_b16 v152, 12, v16
	v_mul_u32_u24_sdwa v16, v95, v32 dst_sel:DWORD dst_unused:UNUSED_PAD src0_sel:WORD_0 src1_sel:DWORD
	v_lshrrev_b32_e32 v155, 20, v19
	v_lshrrev_b16 v153, 12, v17
	v_mul_u32_u24_sdwa v17, v96, v32 dst_sel:DWORD dst_unused:UNUSED_PAD src0_sel:WORD_0 src1_sel:DWORD
	v_lshrrev_b16 v154, 12, v18
	v_lshrrev_b32_e32 v158, 20, v16
	v_mul_lo_u16 v26, v155, 17
	v_mul_u32_u24_sdwa v25, v88, v32 dst_sel:DWORD dst_unused:UNUSED_PAD src0_sel:WORD_0 src1_sel:DWORD
	v_lshrrev_b32_e32 v160, 20, v17
	v_mul_lo_u16 v18, v152, 17
	v_mul_lo_u16 v21, v154, 17
	v_sub_nc_u16 v161, v94, v26
	v_mul_lo_u16 v26, v158, 17
	v_lshrrev_b32_e32 v162, 20, v24
	v_mul_lo_u16 v20, v153, 17
	v_lshrrev_b32_e32 v163, 20, v25
	v_mul_lo_u16 v24, v160, 17
	v_sub_nc_u16 v156, v84, v18
	v_sub_nc_u16 v159, v93, v21
	;; [unrolled: 1-line block ×3, first 2 shown]
	v_mul_lo_u16 v34, v162, 17
	v_sub_nc_u16 v157, v92, v20
	v_mul_lo_u16 v35, v163, 17
	v_sub_nc_u16 v165, v96, v24
	v_mul_u32_u24_sdwa v32, v85, v32 dst_sel:DWORD dst_unused:UNUSED_PAD src0_sel:WORD_0 src1_sel:DWORD
	v_lshlrev_b32_sdwa v16, v33, v156 dst_sel:DWORD dst_unused:UNUSED_PAD src0_sel:DWORD src1_sel:BYTE_0
	v_lshlrev_b32_sdwa v27, v33, v159 dst_sel:DWORD dst_unused:UNUSED_PAD src0_sel:DWORD src1_sel:BYTE_0
	v_sub_nc_u16 v166, v98, v34
	v_lshlrev_b32_sdwa v34, v33, v164 dst_sel:DWORD dst_unused:UNUSED_PAD src0_sel:DWORD src1_sel:WORD_0
	v_lshlrev_b32_sdwa v20, v33, v157 dst_sel:DWORD dst_unused:UNUSED_PAD src0_sel:DWORD src1_sel:BYTE_0
	v_lshlrev_b32_sdwa v28, v33, v161 dst_sel:DWORD dst_unused:UNUSED_PAD src0_sel:DWORD src1_sel:WORD_0
	v_sub_nc_u16 v167, v88, v35
	v_lshlrev_b32_sdwa v35, v33, v165 dst_sel:DWORD dst_unused:UNUSED_PAD src0_sel:DWORD src1_sel:WORD_0
	v_lshrrev_b32_e32 v168, 20, v32
	s_clause 0x5
	global_load_dwordx4 v[16:19], v16, s[8:9]
	global_load_dwordx4 v[20:23], v20, s[8:9]
	global_load_dwordx4 v[24:27], v27, s[8:9]
	global_load_dwordx4 v[28:31], v28, s[8:9]
	global_load_dwordx4 v[36:39], v34, s[8:9]
	global_load_dwordx4 v[40:43], v35, s[8:9]
	v_lshlrev_b32_sdwa v44, v33, v166 dst_sel:DWORD dst_unused:UNUSED_PAD src0_sel:DWORD src1_sel:WORD_0
	v_mul_lo_u16 v32, v168, 17
	v_lshlrev_b32_sdwa v33, v33, v167 dst_sel:DWORD dst_unused:UNUSED_PAD src0_sel:DWORD src1_sel:WORD_0
	s_clause 0x1
	global_load_dwordx4 v[44:47], v44, s[8:9]
	global_load_dwordx4 v[48:51], v33, s[8:9]
	v_sub_nc_u16 v32, v85, v32
	v_and_b32_e32 v170, 0xffff, v153
	v_and_b32_e32 v171, 0xffff, v154
	v_mad_u32_u24 v172, 0x110, v155, 0
	v_mad_u32_u24 v173, 0x110, v158, 0
	v_and_b32_e32 v169, 0xffff, v32
	v_mad_u32_u24 v174, 0x110, v160, 0
	v_mad_u32_u24 v175, 0x110, v163, 0
	;; [unrolled: 1-line block ×4, first 2 shown]
	v_lshlrev_b32_e32 v32, 4, v169
	global_load_dwordx4 v[32:35], v32, s[8:9]
	s_waitcnt vmcnt(0) lgkmcnt(0)
	s_barrier
	buffer_gl0_inv
	v_mul_f64 v[54:55], v[0:1], v[18:19]
	v_mul_f64 v[56:57], v[2:3], v[22:23]
	;; [unrolled: 1-line block ×8, first 2 shown]
	v_fma_f64 v[148:149], v[80:81], v[16:17], v[54:55]
	v_fma_f64 v[55:56], v[82:83], v[20:21], v[56:57]
	;; [unrolled: 1-line block ×6, first 2 shown]
	v_mul_f64 v[150:151], v[52:53], v[34:35]
	v_and_b32_e32 v65, 0xffff, v152
	v_mov_b32_e32 v54, 3
	v_fma_f64 v[144:145], v[68:69], v[44:45], v[144:145]
	v_fma_f64 v[146:147], v[70:71], v[48:49], v[146:147]
	v_lshlrev_b32_sdwa v176, v54, v156 dst_sel:DWORD dst_unused:UNUSED_PAD src0_sel:DWORD src1_sel:BYTE_0
	v_lshlrev_b32_sdwa v177, v54, v157 dst_sel:DWORD dst_unused:UNUSED_PAD src0_sel:DWORD src1_sel:BYTE_0
	;; [unrolled: 1-line block ×3, first 2 shown]
	v_lshlrev_b32_sdwa v179, v54, v161 dst_sel:DWORD dst_unused:UNUSED_PAD src0_sel:DWORD src1_sel:WORD_0
	v_lshlrev_b32_sdwa v164, v54, v164 dst_sel:DWORD dst_unused:UNUSED_PAD src0_sel:DWORD src1_sel:WORD_0
	;; [unrolled: 1-line block ×4, first 2 shown]
	v_add_f64 v[148:149], v[103:104], -v[148:149]
	v_add_f64 v[55:56], v[105:106], -v[55:56]
	;; [unrolled: 1-line block ×6, first 2 shown]
	v_fma_f64 v[63:64], v[101:102], v[32:33], v[150:151]
	v_add_f64 v[144:145], v[115:116], -v[144:145]
	v_add_f64 v[154:155], v[117:118], -v[146:147]
	v_mul_lo_u16 v147, v168, 34
	v_mad_u32_u24 v168, 0x110, v65, 0
	v_mad_u32_u24 v146, 0x110, v162, 0
	v_fma_f64 v[150:151], v[103:104], 2.0, -v[148:149]
	v_fma_f64 v[156:157], v[105:106], 2.0, -v[55:56]
	;; [unrolled: 1-line block ×6, first 2 shown]
	v_add_f64 v[64:65], v[99:100], -v[63:64]
	v_lshlrev_b32_sdwa v63, v54, v167 dst_sel:DWORD dst_unused:UNUSED_PAD src0_sel:DWORD src1_sel:WORD_0
	v_add3_u32 v104, v168, v176, v142
	v_fma_f64 v[114:115], v[115:116], 2.0, -v[144:145]
	v_fma_f64 v[116:117], v[117:118], 2.0, -v[154:155]
	v_add3_u32 v105, v170, v177, v142
	v_add3_u32 v106, v171, v178, v142
	;; [unrolled: 1-line block ×7, first 2 shown]
	v_lshl_add_u32 v103, v169, 3, 0
	ds_write2_b64 v104, v[150:151], v[148:149] offset1:17
	ds_write2_b64 v105, v[156:157], v[55:56] offset1:17
	;; [unrolled: 1-line block ×8, first 2 shown]
	s_and_saveexec_b32 s1, s0
	s_cbranch_execz .LBB0_18
; %bb.17:
	v_fma_f64 v[55:56], v[99:100], 2.0, -v[64:65]
	v_lshlrev_b32_sdwa v54, v54, v147 dst_sel:DWORD dst_unused:UNUSED_PAD src0_sel:DWORD src1_sel:WORD_0
	v_add3_u32 v54, v103, v54, v142
	ds_write2_b64 v54, v[55:56], v[64:65] offset1:17
.LBB0_18:
	s_or_b32 exec_lo, exec_lo, s1
	v_mul_f64 v[18:19], v[80:81], v[18:19]
	v_mul_f64 v[22:23], v[82:83], v[22:23]
	;; [unrolled: 1-line block ×9, first 2 shown]
	s_waitcnt lgkmcnt(0)
	s_barrier
	buffer_gl0_inv
	v_add3_u32 v99, 0, v143, v142
	v_add_nc_u32_e32 v143, 0x1000, v89
	v_add_nc_u32_e32 v145, 0x1800, v89
	;; [unrolled: 1-line block ×4, first 2 shown]
	v_fma_f64 v[0:1], v[0:1], v[16:17], -v[18:19]
	v_fma_f64 v[2:3], v[2:3], v[20:21], -v[22:23]
	;; [unrolled: 1-line block ×9, first 2 shown]
	ds_read_b64 v[42:43], v135
	ds_read_b64 v[69:70], v139
	;; [unrolled: 1-line block ×8, first 2 shown]
	v_add_f64 v[18:19], v[66:67], -v[0:1]
	v_add_f64 v[20:21], v[121:122], -v[2:3]
	;; [unrolled: 1-line block ×8, first 2 shown]
	ds_read_b64 v[54:55], v99
	ds_read2_b64 v[12:15], v143 offset0:100 offset1:168
	ds_read2_b64 v[8:11], v144 offset0:108 offset1:176
	;; [unrolled: 1-line block ×4, first 2 shown]
	s_waitcnt lgkmcnt(0)
	s_barrier
	buffer_gl0_inv
	v_fma_f64 v[34:35], v[66:67], 2.0, -v[18:19]
	v_add_f64 v[66:67], v[119:120], -v[16:17]
	v_fma_f64 v[36:37], v[121:122], 2.0, -v[20:21]
	v_fma_f64 v[38:39], v[123:124], 2.0, -v[22:23]
	;; [unrolled: 1-line block ×7, first 2 shown]
	ds_write2_b64 v104, v[34:35], v[18:19] offset1:17
	ds_write2_b64 v105, v[36:37], v[20:21] offset1:17
	;; [unrolled: 1-line block ×8, first 2 shown]
	s_and_saveexec_b32 s1, s0
	s_cbranch_execz .LBB0_20
; %bb.19:
	v_fma_f64 v[16:17], v[119:120], 2.0, -v[66:67]
	v_mov_b32_e32 v18, 3
	v_lshlrev_b32_sdwa v18, v18, v147 dst_sel:DWORD dst_unused:UNUSED_PAD src0_sel:DWORD src1_sel:WORD_0
	v_add3_u32 v18, v103, v18, v142
	ds_write2_b64 v18, v[16:17], v[66:67] offset1:17
.LBB0_20:
	s_or_b32 exec_lo, exec_lo, s1
	v_subrev_nc_u32_e32 v68, 34, v84
	v_mov_b32_e32 v17, 0
	s_waitcnt lgkmcnt(0)
	s_barrier
	buffer_gl0_inv
	v_cndmask_b32_e64 v73, v68, v84, s0
	s_mov_b32 s16, 0x2a9d6da3
	s_mov_b32 s17, 0xbfe58eea
	;; [unrolled: 1-line block ×4, first 2 shown]
	v_lshlrev_b32_e32 v16, 4, v73
	s_mov_b32 s35, 0x3fe7a5f6
	s_mov_b32 s7, 0xbfefdd0d
	;; [unrolled: 1-line block ×4, first 2 shown]
	v_lshlrev_b64 v[16:17], 4, v[16:17]
	s_mov_b32 s20, 0x7c9e640b
	s_mov_b32 s21, 0xbfeca52d
	;; [unrolled: 1-line block ×5, first 2 shown]
	v_add_co_u32 v71, s1, s8, v16
	v_add_co_ci_u32_e64 v72, s1, s9, v17, s1
	s_mov_b32 s23, 0xbfe9895b
	s_mov_b32 s38, 0x6ed5f1bb
	;; [unrolled: 1-line block ×3, first 2 shown]
	s_clause 0x1
	global_load_dwordx4 v[20:23], v[71:72], off offset:400
	global_load_dwordx4 v[26:29], v[71:72], off offset:416
	ds_read2_b64 v[30:33], v143 offset0:100 offset1:168
	s_mov_b32 s10, 0xacd6c6b4
	s_mov_b32 s11, 0xbfc7851a
	;; [unrolled: 1-line block ×28, first 2 shown]
	v_cmp_lt_u32_e64 s1, 33, v84
	s_mov_b32 s53, 0x3fefdd0d
	s_mov_b32 s52, s6
	;; [unrolled: 1-line block ×4, first 2 shown]
	s_waitcnt vmcnt(1) lgkmcnt(0)
	v_mul_f64 v[16:17], v[30:31], v[22:23]
	v_fma_f64 v[18:19], v[12:13], v[20:21], v[16:17]
	v_mul_f64 v[12:13], v[12:13], v[22:23]
	v_fma_f64 v[20:21], v[30:31], v[20:21], -v[12:13]
	s_waitcnt vmcnt(0)
	v_mul_f64 v[12:13], v[32:33], v[28:29]
	v_fma_f64 v[24:25], v[14:15], v[26:27], v[12:13]
	v_mul_f64 v[12:13], v[14:15], v[28:29]
	v_fma_f64 v[26:27], v[32:33], v[26:27], -v[12:13]
	s_clause 0x1
	global_load_dwordx4 v[12:15], v[71:72], off offset:432
	global_load_dwordx4 v[28:31], v[71:72], off offset:448
	ds_read2_b64 v[38:41], v144 offset0:108 offset1:176
	s_waitcnt vmcnt(1) lgkmcnt(0)
	v_mul_f64 v[16:17], v[38:39], v[14:15]
	v_fma_f64 v[34:35], v[8:9], v[12:13], v[16:17]
	v_mul_f64 v[8:9], v[8:9], v[14:15]
	v_fma_f64 v[32:33], v[38:39], v[12:13], -v[8:9]
	s_waitcnt vmcnt(0)
	v_mul_f64 v[8:9], v[40:41], v[30:31]
	v_fma_f64 v[38:39], v[10:11], v[28:29], v[8:9]
	v_mul_f64 v[8:9], v[10:11], v[30:31]
	v_fma_f64 v[30:31], v[40:41], v[28:29], -v[8:9]
	s_clause 0x1
	global_load_dwordx4 v[8:11], v[71:72], off offset:464
	global_load_dwordx4 v[12:15], v[71:72], off offset:480
	ds_read2_b64 v[44:47], v145 offset0:116 offset1:184
	;; [unrolled: 14-line block ×3, first 2 shown]
	s_waitcnt vmcnt(1) lgkmcnt(0)
	v_mul_f64 v[16:17], v[12:13], v[6:7]
	v_fma_f64 v[46:47], v[0:1], v[4:5], v[16:17]
	v_mul_f64 v[0:1], v[0:1], v[6:7]
	v_fma_f64 v[22:23], v[12:13], v[4:5], -v[0:1]
	s_waitcnt vmcnt(0)
	v_mul_f64 v[0:1], v[14:15], v[10:11]
	v_fma_f64 v[48:49], v[2:3], v[8:9], v[0:1]
	v_mul_f64 v[0:1], v[2:3], v[10:11]
	v_fma_f64 v[16:17], v[14:15], v[8:9], -v[0:1]
	ds_read_b64 v[0:1], v140
	ds_read_b64 v[2:3], v141
	;; [unrolled: 1-line block ×4, first 2 shown]
	s_clause 0x1
	global_load_dwordx4 v[6:9], v[71:72], off offset:272
	global_load_dwordx4 v[10:13], v[71:72], off offset:288
	s_waitcnt vmcnt(1) lgkmcnt(1)
	v_mul_f64 v[14:15], v[4:5], v[8:9]
	v_mul_f64 v[8:9], v[69:70], v[8:9]
	v_fma_f64 v[124:125], v[69:70], v[6:7], v[14:15]
	v_fma_f64 v[120:121], v[4:5], v[6:7], -v[8:9]
	s_waitcnt vmcnt(0)
	v_mul_f64 v[4:5], v[0:1], v[12:13]
	v_fma_f64 v[122:123], v[62:63], v[10:11], v[4:5]
	v_mul_f64 v[4:5], v[62:63], v[12:13]
	v_fma_f64 v[114:115], v[0:1], v[10:11], -v[4:5]
	s_clause 0x1
	global_load_dwordx4 v[4:7], v[71:72], off offset:304
	global_load_dwordx4 v[8:11], v[71:72], off offset:320
	s_waitcnt vmcnt(1)
	v_mul_f64 v[0:1], v[2:3], v[6:7]
	v_fma_f64 v[116:117], v[60:61], v[4:5], v[0:1]
	v_mul_f64 v[0:1], v[60:61], v[6:7]
	v_add_f64 v[74:75], v[116:117], v[44:45]
	v_fma_f64 v[112:113], v[2:3], v[4:5], -v[0:1]
	ds_read_b64 v[0:1], v97
	ds_read_b64 v[12:13], v136
	;; [unrolled: 1-line block ×4, first 2 shown]
	s_waitcnt vmcnt(0) lgkmcnt(3)
	v_mul_f64 v[2:3], v[0:1], v[10:11]
	v_fma_f64 v[108:109], v[58:59], v[8:9], v[2:3]
	v_mul_f64 v[2:3], v[58:59], v[10:11]
	v_add_f64 v[10:11], v[122:123], v[46:47]
	v_add_f64 v[82:83], v[108:109], v[40:41]
	v_fma_f64 v[110:111], v[0:1], v[8:9], -v[2:3]
	s_clause 0x1
	global_load_dwordx4 v[0:3], v[71:72], off offset:336
	global_load_dwordx4 v[4:7], v[71:72], off offset:352
	s_waitcnt vmcnt(1) lgkmcnt(2)
	v_mul_f64 v[8:9], v[12:13], v[2:3]
	v_mul_f64 v[2:3], v[56:57], v[2:3]
	v_fma_f64 v[106:107], v[56:57], v[0:1], v[8:9]
	v_fma_f64 v[60:61], v[12:13], v[0:1], -v[2:3]
	s_waitcnt vmcnt(0) lgkmcnt(1)
	v_mul_f64 v[0:1], v[14:15], v[6:7]
	v_add_f64 v[128:129], v[106:107], v[38:39]
	v_fma_f64 v[104:105], v[52:53], v[4:5], v[0:1]
	v_mul_f64 v[0:1], v[52:53], v[6:7]
	v_add_f64 v[149:150], v[104:105], v[34:35]
	v_fma_f64 v[62:63], v[14:15], v[4:5], -v[0:1]
	s_clause 0x1
	global_load_dwordx4 v[0:3], v[71:72], off offset:368
	global_load_dwordx4 v[4:7], v[71:72], off offset:384
	s_waitcnt vmcnt(1) lgkmcnt(0)
	v_mul_f64 v[8:9], v[69:70], v[2:3]
	v_mul_f64 v[2:3], v[50:51], v[2:3]
	v_fma_f64 v[56:57], v[50:51], v[0:1], v[8:9]
	v_fma_f64 v[58:59], v[69:70], v[0:1], -v[2:3]
	ds_read_b64 v[0:1], v99
	v_add_f64 v[8:9], v[114:115], -v[22:23]
	s_waitcnt vmcnt(0) lgkmcnt(0)
	s_barrier
	buffer_gl0_inv
	v_mul_f64 v[2:3], v[0:1], v[6:7]
	v_add_f64 v[157:158], v[56:57], v[24:25]
	v_mul_f64 v[12:13], v[8:9], s[6:7]
	v_mul_f64 v[69:70], v[8:9], s[22:23]
	;; [unrolled: 1-line block ×5, first 2 shown]
	v_fma_f64 v[50:51], v[54:55], v[4:5], v[2:3]
	v_mul_f64 v[2:3], v[54:55], v[6:7]
	v_fma_f64 v[14:15], v[10:11], s[18:19], v[12:13]
	v_fma_f64 v[71:72], v[10:11], s[38:39], v[69:70]
	;; [unrolled: 1-line block ×5, first 2 shown]
	v_add_f64 v[165:166], v[50:51], v[18:19]
	v_fma_f64 v[52:53], v[0:1], v[4:5], -v[2:3]
	v_add_f64 v[0:1], v[120:121], -v[16:17]
	v_add_f64 v[2:3], v[124:125], v[48:49]
	v_mul_f64 v[4:5], v[0:1], s[16:17]
	v_fma_f64 v[6:7], v[2:3], s[34:35], v[4:5]
	v_fma_f64 v[4:5], v[2:3], s[34:35], -v[4:5]
	v_add_f64 v[6:7], v[42:43], v[6:7]
	v_add_f64 v[4:5], v[42:43], v[4:5]
	;; [unrolled: 1-line block ×3, first 2 shown]
	v_mul_f64 v[14:15], v[0:1], s[20:21]
	v_fma_f64 v[54:55], v[2:3], s[30:31], v[14:15]
	v_add_f64 v[54:55], v[42:43], v[54:55]
	v_add_f64 v[54:55], v[71:72], v[54:55]
	v_add_f64 v[71:72], v[112:113], -v[28:29]
	v_mul_f64 v[76:77], v[71:72], s[22:23]
	v_fma_f64 v[78:79], v[74:75], s[38:39], v[76:77]
	v_add_f64 v[6:7], v[78:79], v[6:7]
	v_mul_f64 v[78:79], v[71:72], s[12:13]
	v_fma_f64 v[80:81], v[74:75], s[28:29], v[78:79]
	v_add_f64 v[54:55], v[80:81], v[54:55]
	v_add_f64 v[80:81], v[110:111], -v[36:37]
	v_mul_f64 v[100:101], v[80:81], s[10:11]
	v_fma_f64 v[102:103], v[82:83], s[28:29], v[100:101]
	v_add_f64 v[6:7], v[102:103], v[6:7]
	v_mul_f64 v[102:103], v[80:81], s[26:27]
	v_fma_f64 v[126:127], v[82:83], s[44:45], v[102:103]
	;; [unrolled: 7-line block ×6, first 2 shown]
	v_add_f64 v[171:172], v[171:172], v[54:55]
	v_cndmask_b32_e64 v54, 0, 0x1210, s1
	v_lshlrev_b32_e32 v55, 3, v73
	v_add_nc_u32_e32 v54, 0, v54
	v_add3_u32 v54, v54, v55, v142
	v_add_nc_u32_e32 v55, 0x800, v54
	ds_write2_b64 v54, v[6:7], v[171:172] offset0:68 offset1:102
	v_mul_f64 v[6:7], v[0:1], s[6:7]
	v_fma_f64 v[171:172], v[2:3], s[18:19], v[6:7]
	v_fma_f64 v[6:7], v[2:3], s[18:19], -v[6:7]
	v_add_f64 v[171:172], v[42:43], v[171:172]
	v_add_f64 v[6:7], v[42:43], v[6:7]
	;; [unrolled: 1-line block ×3, first 2 shown]
	v_mul_f64 v[175:176], v[0:1], s[24:25]
	v_fma_f64 v[177:178], v[2:3], s[44:45], v[175:176]
	v_add_f64 v[177:178], v[42:43], v[177:178]
	v_add_f64 v[177:178], v[181:182], v[177:178]
	v_mul_f64 v[181:182], v[71:72], s[26:27]
	v_fma_f64 v[183:184], v[74:75], s[44:45], v[181:182]
	v_add_f64 v[171:172], v[183:184], v[171:172]
	v_mul_f64 v[183:184], v[71:72], s[42:43]
	v_fma_f64 v[185:186], v[74:75], s[34:35], v[183:184]
	;; [unrolled: 3-line block ×12, first 2 shown]
	v_add_f64 v[177:178], v[205:206], v[177:178]
	v_mul_f64 v[205:206], v[8:9], s[26:27]
	ds_write2_b64 v54, v[171:172], v[177:178] offset0:136 offset1:170
	v_mul_f64 v[171:172], v[0:1], s[22:23]
	v_fma_f64 v[207:208], v[10:11], s[44:45], v[205:206]
	v_fma_f64 v[177:178], v[2:3], s[38:39], v[171:172]
	v_fma_f64 v[171:172], v[2:3], s[38:39], -v[171:172]
	v_add_f64 v[177:178], v[42:43], v[177:178]
	v_add_f64 v[171:172], v[42:43], v[171:172]
	;; [unrolled: 1-line block ×3, first 2 shown]
	v_mul_f64 v[207:208], v[0:1], s[36:37]
	v_fma_f64 v[209:210], v[2:3], s[56:57], v[207:208]
	v_add_f64 v[209:210], v[42:43], v[209:210]
	v_add_f64 v[209:210], v[213:214], v[209:210]
	v_mul_f64 v[213:214], v[71:72], s[48:49]
	v_fma_f64 v[215:216], v[74:75], s[58:59], v[213:214]
	v_add_f64 v[177:178], v[215:216], v[177:178]
	v_mul_f64 v[215:216], v[71:72], s[6:7]
	v_fma_f64 v[217:218], v[74:75], s[18:19], v[215:216]
	;; [unrolled: 3-line block ×12, first 2 shown]
	v_add_f64 v[209:210], v[237:238], v[209:210]
	v_mul_f64 v[237:238], v[8:9], s[50:51]
	ds_write2_b64 v54, v[177:178], v[209:210] offset0:204 offset1:238
	v_mul_f64 v[177:178], v[0:1], s[10:11]
	v_fma_f64 v[239:240], v[10:11], s[58:59], v[237:238]
	v_fma_f64 v[237:238], v[10:11], s[58:59], -v[237:238]
	v_mul_f64 v[0:1], v[0:1], s[48:49]
	v_fma_f64 v[209:210], v[2:3], s[28:29], v[177:178]
	v_fma_f64 v[177:178], v[2:3], s[28:29], -v[177:178]
	v_add_f64 v[209:210], v[42:43], v[209:210]
	v_add_f64 v[177:178], v[42:43], v[177:178]
	;; [unrolled: 1-line block ×4, first 2 shown]
	v_mul_f64 v[237:238], v[71:72], s[36:37]
	v_fma_f64 v[239:240], v[74:75], s[56:57], v[237:238]
	v_fma_f64 v[237:238], v[74:75], s[56:57], -v[237:238]
	v_add_f64 v[209:210], v[239:240], v[209:210]
	v_add_f64 v[177:178], v[237:238], v[177:178]
	v_mul_f64 v[237:238], v[80:81], s[42:43]
	v_fma_f64 v[239:240], v[82:83], s[34:35], v[237:238]
	v_fma_f64 v[237:238], v[82:83], s[34:35], -v[237:238]
	v_add_f64 v[209:210], v[239:240], v[209:210]
	v_add_f64 v[177:178], v[237:238], v[177:178]
	;; [unrolled: 5-line block ×6, first 2 shown]
	ds_write2_b64 v55, v[209:210], v[177:178] offset0:16 offset1:50
	v_fma_f64 v[177:178], v[10:11], s[44:45], -v[205:206]
	v_fma_f64 v[205:206], v[10:11], s[30:31], -v[211:212]
	v_add_f64 v[171:172], v[177:178], v[171:172]
	v_fma_f64 v[177:178], v[2:3], s[56:57], -v[207:208]
	v_add_f64 v[177:178], v[42:43], v[177:178]
	v_add_f64 v[177:178], v[205:206], v[177:178]
	v_fma_f64 v[205:206], v[74:75], s[58:59], -v[213:214]
	v_add_f64 v[171:172], v[205:206], v[171:172]
	v_fma_f64 v[205:206], v[74:75], s[18:19], -v[215:216]
	v_add_f64 v[177:178], v[205:206], v[177:178]
	v_fma_f64 v[205:206], v[82:83], s[56:57], -v[217:218]
	v_add_f64 v[171:172], v[205:206], v[171:172]
	v_fma_f64 v[205:206], v[82:83], s[38:39], -v[219:220]
	v_add_f64 v[177:178], v[205:206], v[177:178]
	v_fma_f64 v[205:206], v[128:129], s[18:19], -v[221:222]
	v_add_f64 v[171:172], v[205:206], v[171:172]
	v_fma_f64 v[205:206], v[128:129], s[58:59], -v[223:224]
	v_add_f64 v[177:178], v[205:206], v[177:178]
	v_fma_f64 v[205:206], v[149:150], s[34:35], -v[225:226]
	v_add_f64 v[171:172], v[205:206], v[171:172]
	v_fma_f64 v[205:206], v[149:150], s[28:29], -v[227:228]
	v_add_f64 v[177:178], v[205:206], v[177:178]
	v_fma_f64 v[205:206], v[157:158], s[28:29], -v[229:230]
	v_add_f64 v[171:172], v[205:206], v[171:172]
	v_fma_f64 v[205:206], v[157:158], s[34:35], -v[231:232]
	v_add_f64 v[177:178], v[205:206], v[177:178]
	v_fma_f64 v[205:206], v[165:166], s[30:31], -v[233:234]
	v_add_f64 v[171:172], v[205:206], v[171:172]
	v_fma_f64 v[205:206], v[165:166], s[44:45], -v[235:236]
	v_add_f64 v[177:178], v[205:206], v[177:178]
	ds_write2_b64 v55, v[177:178], v[171:172] offset0:84 offset1:118
	v_fma_f64 v[171:172], v[10:11], s[28:29], -v[173:174]
	v_fma_f64 v[173:174], v[10:11], s[56:57], -v[179:180]
	v_add_f64 v[6:7], v[171:172], v[6:7]
	v_fma_f64 v[171:172], v[2:3], s[44:45], -v[175:176]
	v_add_f64 v[171:172], v[42:43], v[171:172]
	v_add_f64 v[171:172], v[173:174], v[171:172]
	v_fma_f64 v[173:174], v[74:75], s[44:45], -v[181:182]
	v_add_f64 v[6:7], v[173:174], v[6:7]
	v_fma_f64 v[173:174], v[74:75], s[34:35], -v[183:184]
	v_add_f64 v[171:172], v[173:174], v[171:172]
	v_fma_f64 v[173:174], v[82:83], s[58:59], -v[185:186]
	v_add_f64 v[6:7], v[173:174], v[6:7]
	v_fma_f64 v[173:174], v[82:83], s[30:31], -v[187:188]
	v_add_f64 v[171:172], v[173:174], v[171:172]
	v_fma_f64 v[173:174], v[128:129], s[30:31], -v[189:190]
	v_add_f64 v[6:7], v[173:174], v[6:7]
	v_fma_f64 v[173:174], v[128:129], s[28:29], -v[191:192]
	v_add_f64 v[171:172], v[173:174], v[171:172]
	v_fma_f64 v[173:174], v[149:150], s[56:57], -v[193:194]
	v_add_f64 v[6:7], v[173:174], v[6:7]
	v_fma_f64 v[173:174], v[149:150], s[18:19], -v[195:196]
	v_add_f64 v[171:172], v[173:174], v[171:172]
	v_fma_f64 v[173:174], v[157:158], s[38:39], -v[197:198]
	v_add_f64 v[6:7], v[173:174], v[6:7]
	v_fma_f64 v[173:174], v[157:158], s[58:59], -v[199:200]
	v_add_f64 v[171:172], v[173:174], v[171:172]
	v_fma_f64 v[173:174], v[165:166], s[34:35], -v[201:202]
	v_add_f64 v[6:7], v[173:174], v[6:7]
	v_fma_f64 v[173:174], v[165:166], s[38:39], -v[203:204]
	v_add_f64 v[171:172], v[173:174], v[171:172]
	;; [unrolled: 31-line block ×3, first 2 shown]
	ds_write2_b64 v55, v[6:7], v[4:5] offset0:220 offset1:254
	v_mul_f64 v[4:5], v[8:9], s[16:17]
	v_fma_f64 v[6:7], v[2:3], s[58:59], v[0:1]
	v_fma_f64 v[0:1], v[2:3], s[58:59], -v[0:1]
	v_fma_f64 v[8:9], v[10:11], s[34:35], v[4:5]
	v_add_f64 v[6:7], v[42:43], v[6:7]
	v_fma_f64 v[2:3], v[10:11], s[34:35], -v[4:5]
	v_add_f64 v[0:1], v[42:43], v[0:1]
	v_add_f64 v[6:7], v[8:9], v[6:7]
	v_mul_f64 v[8:9], v[71:72], s[20:21]
	v_add_f64 v[0:1], v[2:3], v[0:1]
	v_fma_f64 v[12:13], v[74:75], s[30:31], v[8:9]
	v_fma_f64 v[4:5], v[74:75], s[30:31], -v[8:9]
	v_add_f64 v[6:7], v[12:13], v[6:7]
	v_mul_f64 v[12:13], v[80:81], s[6:7]
	v_add_f64 v[0:1], v[4:5], v[0:1]
	v_fma_f64 v[14:15], v[82:83], s[18:19], v[12:13]
	v_fma_f64 v[2:3], v[82:83], s[18:19], -v[12:13]
	;; [unrolled: 5-line block ×6, first 2 shown]
	v_add_f64 v[6:7], v[78:79], v[6:7]
	v_add_f64 v[78:79], v[42:43], v[124:125]
	;; [unrolled: 1-line block ×4, first 2 shown]
	ds_write_b64 v54, v[70:71] offset:4352
	v_add_f64 v[78:79], v[78:79], v[116:117]
	v_add_f64 v[78:79], v[78:79], v[108:109]
	;; [unrolled: 1-line block ×14, first 2 shown]
	ds_write2_b64 v54, v[78:79], v[6:7] offset1:34
	s_waitcnt lgkmcnt(0)
	s_barrier
	buffer_gl0_inv
	ds_read_b64 v[72:73], v135
	ds_read_b64 v[76:77], v139
	;; [unrolled: 1-line block ×8, first 2 shown]
	ds_read2_b64 v[8:11], v143 offset0:66 offset1:134
	ds_read2_b64 v[4:7], v144 offset0:74 offset1:142
	;; [unrolled: 1-line block ×4, first 2 shown]
	s_and_saveexec_b32 s1, s0
	s_cbranch_execz .LBB0_22
; %bb.21:
	ds_read_b64 v[70:71], v99
	ds_read_b64 v[64:65], v89 offset:8976
.LBB0_22:
	s_or_b32 exec_lo, exec_lo, s1
	v_add_f64 v[42:43], v[124:125], -v[48:49]
	v_add_f64 v[48:49], v[120:121], v[16:17]
	v_add_f64 v[46:47], v[122:123], -v[46:47]
	v_add_f64 v[44:45], v[116:117], -v[44:45]
	;; [unrolled: 1-line block ×7, first 2 shown]
	s_waitcnt lgkmcnt(0)
	s_barrier
	buffer_gl0_inv
	v_mul_f64 v[122:123], v[48:49], s[58:59]
	v_mul_f64 v[124:125], v[48:49], s[34:35]
	;; [unrolled: 1-line block ×8, first 2 shown]
	v_fma_f64 v[144:145], v[42:43], s[50:51], v[122:123]
	v_fma_f64 v[122:123], v[42:43], s[48:49], v[122:123]
	v_fma_f64 v[146:147], v[42:43], s[42:43], v[124:125]
	v_fma_f64 v[124:125], v[42:43], s[16:17], v[124:125]
	v_fma_f64 v[148:149], v[42:43], s[46:47], v[126:127]
	v_fma_f64 v[126:127], v[42:43], s[20:21], v[126:127]
	v_fma_f64 v[150:151], v[42:43], s[52:53], v[128:129]
	v_fma_f64 v[128:129], v[42:43], s[6:7], v[128:129]
	v_fma_f64 v[152:153], v[42:43], s[26:27], v[130:131]
	v_fma_f64 v[130:131], v[42:43], s[24:25], v[130:131]
	v_fma_f64 v[154:155], v[42:43], s[54:55], v[132:133]
	v_fma_f64 v[132:133], v[42:43], s[22:23], v[132:133]
	v_fma_f64 v[156:157], v[42:43], s[40:41], v[142:143]
	v_fma_f64 v[142:143], v[42:43], s[36:37], v[142:143]
	v_fma_f64 v[158:159], v[42:43], s[12:13], v[48:49]
	v_fma_f64 v[42:43], v[42:43], s[10:11], v[48:49]
	v_add_f64 v[48:49], v[114:115], v[22:23]
	v_add_f64 v[122:123], v[118:119], v[122:123]
	;; [unrolled: 1-line block ×9, first 2 shown]
	v_mul_f64 v[160:161], v[48:49], s[34:35]
	v_mul_f64 v[162:163], v[48:49], s[18:19]
	;; [unrolled: 1-line block ×8, first 2 shown]
	v_fma_f64 v[174:175], v[46:47], s[42:43], v[160:161]
	v_fma_f64 v[160:161], v[46:47], s[16:17], v[160:161]
	;; [unrolled: 1-line block ×16, first 2 shown]
	v_add_f64 v[48:49], v[118:119], v[120:121]
	v_add_f64 v[120:121], v[118:119], v[144:145]
	;; [unrolled: 1-line block ×27, first 2 shown]
	v_mul_f64 v[152:153], v[46:47], s[30:31]
	v_mul_f64 v[154:155], v[46:47], s[38:39]
	;; [unrolled: 1-line block ×8, first 2 shown]
	v_fma_f64 v[166:167], v[44:45], s[46:47], v[152:153]
	v_fma_f64 v[152:153], v[44:45], s[20:21], v[152:153]
	;; [unrolled: 1-line block ×16, first 2 shown]
	v_add_f64 v[46:47], v[48:49], v[112:113]
	v_add_f64 v[48:49], v[166:167], v[114:115]
	v_add_f64 v[112:113], v[152:153], v[116:117]
	v_add_f64 v[114:115], v[168:169], v[118:119]
	v_add_f64 v[116:117], v[154:155], v[120:121]
	v_add_f64 v[118:119], v[170:171], v[122:123]
	v_add_f64 v[120:121], v[156:157], v[124:125]
	v_add_f64 v[122:123], v[172:173], v[126:127]
	v_add_f64 v[124:125], v[158:159], v[128:129]
	v_add_f64 v[126:127], v[174:175], v[144:145]
	v_add_f64 v[128:129], v[160:161], v[130:131]
	v_add_f64 v[130:131], v[176:177], v[146:147]
	v_add_f64 v[132:133], v[162:163], v[132:133]
	v_add_f64 v[144:145], v[178:179], v[148:149]
	v_add_f64 v[142:143], v[164:165], v[142:143]
	v_add_f64 v[146:147], v[180:181], v[150:151]
	v_add_f64 v[42:43], v[44:45], v[42:43]
	v_add_f64 v[44:45], v[46:47], v[110:111]
	v_add_f64 v[46:47], v[110:111], v[36:37]
	v_add_f64 v[44:45], v[44:45], v[60:61]
	v_mul_f64 v[108:109], v[46:47], s[18:19]
	v_mul_f64 v[110:111], v[46:47], s[28:29]
	;; [unrolled: 1-line block ×8, first 2 shown]
	v_add_f64 v[44:45], v[44:45], v[62:63]
	v_fma_f64 v[158:159], v[40:41], s[52:53], v[108:109]
	v_fma_f64 v[108:109], v[40:41], s[6:7], v[108:109]
	;; [unrolled: 1-line block ×16, first 2 shown]
	v_add_f64 v[46:47], v[62:63], v[32:33]
	v_add_f64 v[44:45], v[44:45], v[58:59]
	;; [unrolled: 1-line block ×7, first 2 shown]
	v_mul_f64 v[42:43], v[46:47], s[44:45]
	v_mul_f64 v[144:145], v[46:47], s[56:57]
	v_add_f64 v[44:45], v[44:45], v[52:53]
	v_add_f64 v[44:45], v[44:45], v[20:21]
	;; [unrolled: 1-line block ×5, first 2 shown]
	v_mul_f64 v[50:51], v[20:21], s[58:59]
	v_add_f64 v[32:33], v[44:45], v[32:33]
	v_add_f64 v[44:45], v[60:61], v[30:31]
	;; [unrolled: 1-line block ×3, first 2 shown]
	v_mul_f64 v[60:61], v[44:45], s[44:45]
	v_mul_f64 v[62:63], v[44:45], s[56:57]
	;; [unrolled: 1-line block ×9, first 2 shown]
	v_add_f64 v[30:31], v[30:31], v[36:37]
	v_fma_f64 v[180:181], v[38:39], s[26:27], v[60:61]
	v_fma_f64 v[60:61], v[38:39], s[24:25], v[60:61]
	;; [unrolled: 1-line block ×16, first 2 shown]
	v_add_f64 v[44:45], v[158:159], v[48:49]
	v_add_f64 v[48:49], v[108:109], v[112:113]
	;; [unrolled: 1-line block ×11, first 2 shown]
	v_mul_f64 v[142:143], v[46:47], s[58:59]
	v_mul_f64 v[146:147], v[46:47], s[18:19]
	;; [unrolled: 1-line block ×5, first 2 shown]
	v_fma_f64 v[152:153], v[34:35], s[54:55], v[32:33]
	v_fma_f64 v[32:33], v[34:35], s[22:23], v[32:33]
	;; [unrolled: 1-line block ×6, first 2 shown]
	v_add_f64 v[44:45], v[180:181], v[44:45]
	v_add_f64 v[38:39], v[38:39], v[40:41]
	;; [unrolled: 1-line block ×3, first 2 shown]
	v_mul_f64 v[30:31], v[26:27], s[56:57]
	v_add_f64 v[104:105], v[104:105], v[114:115]
	v_add_f64 v[106:107], v[106:107], v[118:119]
	v_add_f64 v[118:119], v[192:193], v[128:129]
	v_add_f64 v[114:115], v[190:191], v[124:125]
	v_fma_f64 v[156:157], v[34:35], s[50:51], v[142:143]
	v_fma_f64 v[142:143], v[34:35], s[48:49], v[142:143]
	;; [unrolled: 1-line block ×10, first 2 shown]
	v_add_f64 v[46:47], v[60:61], v[48:49]
	v_add_f64 v[48:49], v[182:183], v[108:109]
	;; [unrolled: 1-line block ×13, first 2 shown]
	v_mul_f64 v[28:29], v[20:21], s[34:35]
	v_add_f64 v[34:35], v[34:35], v[38:39]
	v_add_f64 v[32:33], v[32:33], v[46:47]
	;; [unrolled: 1-line block ×10, first 2 shown]
	v_mul_f64 v[38:39], v[26:27], s[30:31]
	v_mul_f64 v[110:111], v[26:27], s[18:19]
	;; [unrolled: 1-line block ×7, first 2 shown]
	v_add_f64 v[40:41], v[154:155], v[48:49]
	v_add_f64 v[48:49], v[158:159], v[108:109]
	;; [unrolled: 1-line block ×4, first 2 shown]
	v_fma_f64 v[120:121], v[24:25], s[40:41], v[30:31]
	v_fma_f64 v[30:31], v[24:25], s[36:37], v[30:31]
	v_add_f64 v[16:17], v[22:23], v[16:17]
	v_fma_f64 v[122:123], v[24:25], s[20:21], v[38:39]
	v_fma_f64 v[38:39], v[24:25], s[46:47], v[38:39]
	;; [unrolled: 1-line block ×14, first 2 shown]
	v_add_f64 v[26:27], v[120:121], v[36:37]
	v_add_f64 v[30:31], v[30:31], v[32:33]
	;; [unrolled: 1-line block ×15, first 2 shown]
	v_mul_f64 v[104:105], v[20:21], s[56:57]
	v_add_f64 v[24:25], v[24:25], v[34:35]
	v_mul_f64 v[34:35], v[20:21], s[38:39]
	v_mul_f64 v[106:107], v[20:21], s[30:31]
	;; [unrolled: 1-line block ×5, first 2 shown]
	v_fma_f64 v[112:113], v[18:19], s[48:49], v[50:51]
	v_fma_f64 v[50:51], v[18:19], s[50:51], v[50:51]
	;; [unrolled: 1-line block ×16, first 2 shown]
	v_add_f64 v[22:23], v[112:113], v[32:33]
	v_add_f64 v[28:29], v[28:29], v[44:45]
	;; [unrolled: 1-line block ×16, first 2 shown]
	ds_write2_b64 v54, v[16:17], v[20:21] offset1:34
	ds_write2_b64 v54, v[22:23], v[32:33] offset0:68 offset1:102
	ds_write2_b64 v54, v[36:37], v[38:39] offset0:136 offset1:170
	ds_write2_b64 v54, v[42:43], v[46:47] offset0:204 offset1:238
	ds_write2_b64 v55, v[50:51], v[24:25] offset0:16 offset1:50
	ds_write2_b64 v55, v[52:53], v[44:45] offset0:84 offset1:118
	ds_write2_b64 v55, v[34:35], v[28:29] offset0:152 offset1:186
	ds_write2_b64 v55, v[40:41], v[26:27] offset0:220 offset1:254
	ds_write_b64 v54, v[104:105] offset:4352
	v_add_nc_u32_e32 v16, 0x1000, v89
	v_add_nc_u32_e32 v20, 0x1400, v89
	;; [unrolled: 1-line block ×4, first 2 shown]
	s_waitcnt lgkmcnt(0)
	s_barrier
	buffer_gl0_inv
	ds_read2_b64 v[16:19], v16 offset0:66 offset1:134
	ds_read2_b64 v[20:23], v20 offset0:74 offset1:142
	ds_read_b64 v[112:113], v135
	ds_read_b64 v[110:111], v139
	;; [unrolled: 1-line block ×4, first 2 shown]
	ds_read2_b64 v[24:27], v24 offset0:82 offset1:150
	ds_read2_b64 v[28:31], v28 offset0:90 offset1:158
	ds_read_b64 v[118:119], v97
	ds_read_b64 v[116:117], v136
	;; [unrolled: 1-line block ×4, first 2 shown]
	s_and_saveexec_b32 s1, s0
	s_cbranch_execz .LBB0_24
; %bb.23:
	ds_read_b64 v[104:105], v99
	ds_read_b64 v[66:67], v89 offset:8976
	v_mov_b32_e32 v68, v85
.LBB0_24:
	s_or_b32 exec_lo, exec_lo, s1
	s_and_saveexec_b32 s0, vcc_lo
	s_cbranch_execz .LBB0_27
; %bb.25:
	v_mov_b32_e32 v89, 0
	v_mul_lo_u32 v69, s5, v90
	v_lshlrev_b64 v[86:87], 4, v[86:87]
	v_mov_b32_e32 v99, v89
	v_lshlrev_b64 v[32:33], 4, v[88:89]
	v_mov_b32_e32 v97, v89
	v_mov_b32_e32 v85, v89
	v_mul_lo_u32 v88, s4, v91
	v_lshlrev_b64 v[34:35], 4, v[98:99]
	v_mad_u64_u32 v[90:91], null, s4, v90, 0
	v_add_co_u32 v32, vcc_lo, s8, v32
	v_add_co_ci_u32_e32 v33, vcc_lo, s9, v33, vcc_lo
	v_add_co_u32 v34, vcc_lo, s8, v34
	v_add_co_ci_u32_e32 v35, vcc_lo, s9, v35, vcc_lo
	v_lshlrev_b64 v[36:37], 4, v[96:97]
	v_add_co_u32 v32, vcc_lo, 0x2000, v32
	v_add_co_ci_u32_e32 v33, vcc_lo, 0, v33, vcc_lo
	v_add_co_u32 v34, vcc_lo, 0x2000, v34
	v_mov_b32_e32 v96, v89
	v_add_co_ci_u32_e32 v35, vcc_lo, 0, v35, vcc_lo
	v_add_co_u32 v38, vcc_lo, s8, v36
	v_add_co_ci_u32_e32 v39, vcc_lo, s9, v37, vcc_lo
	v_lshlrev_b64 v[36:37], 4, v[95:96]
	v_mov_b32_e32 v95, v89
	v_add_co_u32 v38, vcc_lo, 0x2000, v38
	v_add_co_ci_u32_e32 v39, vcc_lo, 0, v39, vcc_lo
	v_add_co_u32 v36, vcc_lo, s8, v36
	v_lshlrev_b64 v[48:49], 4, v[94:95]
	v_mov_b32_e32 v94, v89
	v_add_co_ci_u32_e32 v37, vcc_lo, s9, v37, vcc_lo
	v_add_co_u32 v36, vcc_lo, 0x2000, v36
	v_lshlrev_b64 v[50:51], 4, v[93:94]
	v_add_co_ci_u32_e32 v37, vcc_lo, 0, v37, vcc_lo
	v_add_co_u32 v54, vcc_lo, s8, v48
	v_add_co_ci_u32_e32 v55, vcc_lo, s9, v49, vcc_lo
	v_add_co_u32 v50, vcc_lo, s8, v50
	v_mov_b32_e32 v93, v89
	v_add_co_ci_u32_e32 v51, vcc_lo, s9, v51, vcc_lo
	v_lshlrev_b64 v[48:49], 4, v[84:85]
	v_add_co_u32 v50, vcc_lo, 0x2000, v50
	v_lshlrev_b64 v[52:53], 4, v[92:93]
	v_add_co_ci_u32_e32 v51, vcc_lo, 0, v51, vcc_lo
	v_add_co_u32 v48, vcc_lo, s8, v48
	v_add_co_ci_u32_e32 v49, vcc_lo, s9, v49, vcc_lo
	v_add_co_u32 v52, vcc_lo, s8, v52
	;; [unrolled: 2-line block ×4, first 2 shown]
	v_add_co_ci_u32_e32 v53, vcc_lo, 0, v53, vcc_lo
	s_clause 0x4
	global_load_dwordx4 v[44:47], v[32:33], off offset:784
	global_load_dwordx4 v[40:43], v[34:35], off offset:784
	;; [unrolled: 1-line block ×5, first 2 shown]
	v_add_co_u32 v48, vcc_lo, 0x2000, v54
	v_add_co_ci_u32_e32 v49, vcc_lo, 0, v55, vcc_lo
	s_clause 0x2
	global_load_dwordx4 v[60:63], v[52:53], off offset:784
	global_load_dwordx4 v[52:55], v[50:51], off offset:784
	;; [unrolled: 1-line block ×3, first 2 shown]
	v_mul_hi_u32 v92, 0xe2c4a689, v84
	v_add_nc_u32_e32 v93, 0x44, v84
	v_add_nc_u32_e32 v94, 0x88, v84
	;; [unrolled: 1-line block ×7, first 2 shown]
	v_mul_hi_u32 v122, 0xe2c4a689, v93
	v_mul_hi_u32 v123, 0xe2c4a689, v94
	;; [unrolled: 1-line block ×5, first 2 shown]
	v_lshrrev_b32_e32 v92, 9, v92
	v_add3_u32 v91, v91, v88, v69
	v_mul_hi_u32 v69, 0xe2c4a689, v98
	v_mul_hi_u32 v88, 0xe2c4a689, v99
	v_lshrrev_b32_e32 v122, 9, v122
	v_mul_u32_u24_e32 v92, 0x242, v92
	v_lshrrev_b32_e32 v123, 9, v123
	v_lshrrev_b32_e32 v124, 9, v124
	v_lshlrev_b64 v[90:91], 4, v[90:91]
	v_lshrrev_b32_e32 v125, 9, v125
	v_lshrrev_b32_e32 v126, 9, v126
	;; [unrolled: 1-line block ×4, first 2 shown]
	v_sub_nc_u32_e32 v130, v84, v92
	v_mul_u32_u24_e32 v92, 0x242, v122
	v_mul_u32_u24_e32 v127, 0x242, v123
	;; [unrolled: 1-line block ×6, first 2 shown]
	v_add_co_u32 v134, s0, s14, v90
	v_mul_u32_u24_e32 v133, 0x242, v88
	v_add_co_ci_u32_e64 v135, s0, s15, v91, s0
	v_mad_u64_u32 v[90:91], null, s2, v130, 0
	v_add_nc_u32_e32 v145, 0x242, v130
	v_sub_nc_u32_e32 v136, v93, v92
	v_sub_nc_u32_e32 v94, v94, v127
	;; [unrolled: 1-line block ×7, first 2 shown]
	v_mad_u64_u32 v[92:93], null, s2, v145, 0
	v_mad_u32_u24 v147, 0x484, v122, v136
	v_mad_u32_u24 v148, 0x484, v123, v94
	;; [unrolled: 1-line block ×6, first 2 shown]
	v_mov_b32_e32 v69, v91
	v_mad_u32_u24 v153, 0x484, v88, v99
	v_mad_u64_u32 v[94:95], null, s2, v147, 0
	v_mad_u64_u32 v[96:97], null, s2, v148, 0
	v_add_nc_u32_e32 v155, 0x242, v148
	v_mad_u64_u32 v[98:99], null, s2, v149, 0
	v_add_nc_u32_e32 v154, 0x242, v147
	v_add_nc_u32_e32 v156, 0x242, v149
	v_mad_u64_u32 v[122:123], null, s2, v150, 0
	v_add_nc_u32_e32 v157, 0x242, v150
	v_mad_u64_u32 v[124:125], null, s2, v151, 0
	v_mad_u64_u32 v[130:131], null, s3, v130, v[69:70]
	v_mov_b32_e32 v69, v93
	v_add_nc_u32_e32 v158, 0x242, v151
	v_mad_u64_u32 v[126:127], null, s2, v152, 0
	v_add_co_u32 v86, s0, v134, v86
	v_add_nc_u32_e32 v159, 0x242, v152
	v_mad_u64_u32 v[128:129], null, s2, v153, 0
	v_add_nc_u32_e32 v160, 0x242, v153
	v_mad_u64_u32 v[133:134], null, s2, v155, 0
	v_add_co_ci_u32_e64 v87, s0, v135, v87, s0
	v_mad_u64_u32 v[131:132], null, s2, v154, 0
	v_mad_u64_u32 v[135:136], null, s2, v156, 0
	v_mad_u64_u32 v[137:138], null, s2, v157, 0
	v_mad_u64_u32 v[145:146], null, s3, v145, v[69:70]
	v_mov_b32_e32 v69, v95
	v_mov_b32_e32 v88, v97
	v_mad_u64_u32 v[139:140], null, s2, v158, 0
	v_mov_b32_e32 v93, v99
	v_mad_u64_u32 v[141:142], null, s2, v159, 0
	;; [unrolled: 2-line block ×3, first 2 shown]
	v_mov_b32_e32 v97, v125
	v_mov_b32_e32 v99, v127
	;; [unrolled: 1-line block ×4, first 2 shown]
	v_mad_u64_u32 v[129:130], null, s3, v147, v[69:70]
	v_mad_u64_u32 v[146:147], null, s3, v148, v[88:89]
	v_mov_b32_e32 v88, v134
	v_mad_u64_u32 v[147:148], null, s3, v149, v[93:94]
	v_mov_b32_e32 v69, v132
	v_mov_b32_e32 v125, v136
	v_mad_u64_u32 v[148:149], null, s3, v150, v[95:96]
	v_mov_b32_e32 v95, v138
	v_mad_u64_u32 v[149:150], null, s3, v151, v[97:98]
	;; [unrolled: 2-line block ×6, first 2 shown]
	v_mad_u64_u32 v[153:154], null, s3, v156, v[125:126]
	v_mad_u64_u32 v[154:155], null, s3, v157, v[95:96]
	v_mad_u64_u32 v[155:156], null, s3, v158, v[97:98]
	v_mad_u64_u32 v[156:157], null, s3, v159, v[99:100]
	v_mad_u64_u32 v[157:158], null, s3, v160, v[123:124]
	v_mov_b32_e32 v132, v144
	v_mov_b32_e32 v134, v152
	;; [unrolled: 1-line block ×9, first 2 shown]
	v_lshlrev_b64 v[130:131], 4, v[131:132]
	v_lshlrev_b64 v[132:133], 4, v[133:134]
	;; [unrolled: 1-line block ×7, first 2 shown]
	v_mov_b32_e32 v123, v148
	v_mov_b32_e32 v125, v149
	;; [unrolled: 1-line block ×5, first 2 shown]
	v_lshlrev_b64 v[90:91], 4, v[90:91]
	v_lshlrev_b64 v[92:93], 4, v[92:93]
	v_lshlrev_b64 v[94:95], 4, v[94:95]
	v_lshlrev_b64 v[96:97], 4, v[96:97]
	v_lshlrev_b64 v[98:99], 4, v[98:99]
	v_lshlrev_b64 v[122:123], 4, v[122:123]
	v_add_co_u32 v90, s0, v86, v90
	v_add_co_ci_u32_e64 v91, s0, v87, v91, s0
	v_add_co_u32 v92, s0, v86, v92
	v_add_co_ci_u32_e64 v93, s0, v87, v93, s0
	;; [unrolled: 2-line block ×4, first 2 shown]
	v_lshlrev_b64 v[124:125], 4, v[124:125]
	v_add_co_u32 v98, s0, v86, v98
	v_add_co_ci_u32_e64 v99, s0, v87, v99, s0
	v_lshlrev_b64 v[126:127], 4, v[126:127]
	v_add_co_u32 v122, s0, v86, v122
	v_add_co_ci_u32_e64 v123, s0, v87, v123, s0
	;; [unrolled: 3-line block ×3, first 2 shown]
	v_add_co_u32 v126, s0, v86, v126
	v_add_co_ci_u32_e64 v127, s0, v87, v127, s0
	v_add_co_u32 v128, s0, v86, v128
	v_add_co_ci_u32_e64 v129, s0, v87, v129, s0
	;; [unrolled: 2-line block ×5, first 2 shown]
	v_add_co_u32 v136, s0, v86, v136
	v_add_nc_u32_e32 v85, 0x220, v84
	v_add_co_ci_u32_e64 v137, s0, v87, v137, s0
	v_add_co_u32 v138, s0, v86, v138
	v_add_co_ci_u32_e64 v139, s0, v87, v139, s0
	v_cmp_gt_u32_e32 vcc_lo, 0x242, v85
	s_waitcnt vmcnt(7)
	v_mul_f64 v[144:145], v[14:15], v[46:47]
	s_waitcnt vmcnt(6)
	v_mul_f64 v[146:147], v[12:13], v[42:43]
	s_waitcnt lgkmcnt(4)
	v_mul_f64 v[42:43], v[28:29], v[42:43]
	v_mul_f64 v[46:47], v[30:31], v[46:47]
	s_waitcnt vmcnt(3)
	v_mul_f64 v[152:153], v[8:9], v[58:59]
	v_mul_f64 v[58:59], v[16:17], v[58:59]
	;; [unrolled: 1-line block ×4, first 2 shown]
	s_waitcnt vmcnt(2)
	v_mul_f64 v[154:155], v[10:11], v[62:63]
	v_mul_f64 v[62:63], v[18:19], v[62:63]
	s_waitcnt vmcnt(1)
	v_mul_f64 v[156:157], v[4:5], v[54:55]
	v_mul_f64 v[54:55], v[20:21], v[54:55]
	;; [unrolled: 3-line block ×3, first 2 shown]
	v_mul_f64 v[38:39], v[24:25], v[38:39]
	v_mul_f64 v[34:35], v[26:27], v[34:35]
	v_fma_f64 v[30:31], v[30:31], v[44:45], -v[144:145]
	v_fma_f64 v[28:29], v[28:29], v[40:41], -v[146:147]
	v_fma_f64 v[40:41], v[12:13], v[40:41], v[42:43]
	v_fma_f64 v[14:15], v[14:15], v[44:45], v[46:47]
	v_fma_f64 v[12:13], v[16:17], v[56:57], -v[152:153]
	v_fma_f64 v[8:9], v[8:9], v[56:57], v[58:59]
	v_fma_f64 v[42:43], v[26:27], v[32:33], -v[148:149]
	v_fma_f64 v[24:25], v[24:25], v[36:37], -v[150:151]
	;; [unrolled: 1-line block ×3, first 2 shown]
	v_fma_f64 v[18:19], v[10:11], v[60:61], v[62:63]
	v_fma_f64 v[20:21], v[20:21], v[52:53], -v[156:157]
	v_fma_f64 v[4:5], v[4:5], v[52:53], v[54:55]
	v_fma_f64 v[22:23], v[22:23], v[48:49], -v[158:159]
	v_fma_f64 v[26:27], v[6:7], v[48:49], v[50:51]
	v_fma_f64 v[36:37], v[0:1], v[36:37], v[38:39]
	;; [unrolled: 1-line block ×3, first 2 shown]
	s_waitcnt lgkmcnt(0)
	v_add_f64 v[2:3], v[120:121], -v[30:31]
	v_add_f64 v[6:7], v[114:115], -v[28:29]
	;; [unrolled: 1-line block ×16, first 2 shown]
	v_fma_f64 v[34:35], v[120:121], 2.0, -v[2:3]
	v_fma_f64 v[62:63], v[114:115], 2.0, -v[6:7]
	;; [unrolled: 1-line block ×6, first 2 shown]
	v_add_co_u32 v72, s0, v86, v140
	v_fma_f64 v[42:43], v[110:111], 2.0, -v[14:15]
	v_fma_f64 v[40:41], v[76:77], 2.0, -v[12:13]
	;; [unrolled: 1-line block ×10, first 2 shown]
	v_add_co_ci_u32_e64 v73, s0, v87, v141, s0
	v_add_co_u32 v74, s0, v86, v142
	v_add_co_ci_u32_e64 v75, s0, v87, v143, s0
	global_store_dwordx4 v[90:91], v[36:39], off
	global_store_dwordx4 v[92:93], v[8:11], off
	;; [unrolled: 1-line block ×16, first 2 shown]
	s_and_b32 exec_lo, exec_lo, vcc_lo
	s_cbranch_execz .LBB0_27
; %bb.26:
	v_mov_b32_e32 v69, v89
	v_add_nc_u32_e32 v6, 0x462, v84
	v_mad_u64_u32 v[8:9], null, s2, v85, 0
	v_lshlrev_b64 v[0:1], 4, v[68:69]
	v_mad_u64_u32 v[10:11], null, s2, v6, 0
	v_add_co_u32 v0, vcc_lo, s8, v0
	v_add_co_ci_u32_e32 v1, vcc_lo, s9, v1, vcc_lo
	v_add_co_u32 v0, vcc_lo, 0x2000, v0
	v_add_co_ci_u32_e32 v1, vcc_lo, 0, v1, vcc_lo
	global_load_dwordx4 v[0:3], v[0:1], off offset:784
	s_waitcnt vmcnt(0)
	v_mul_f64 v[4:5], v[66:67], v[2:3]
	v_mul_f64 v[2:3], v[64:65], v[2:3]
	v_fma_f64 v[4:5], v[64:65], v[0:1], v[4:5]
	v_fma_f64 v[2:3], v[66:67], v[0:1], -v[2:3]
	v_add_f64 v[0:1], v[70:71], -v[4:5]
	v_add_f64 v[2:3], v[104:105], -v[2:3]
	v_mov_b32_e32 v4, v9
	v_mov_b32_e32 v5, v11
	v_mad_u64_u32 v[11:12], null, s3, v85, v[4:5]
	v_mad_u64_u32 v[12:13], null, s3, v6, v[5:6]
	v_mov_b32_e32 v9, v11
	v_mov_b32_e32 v11, v12
	v_lshlrev_b64 v[8:9], 4, v[8:9]
	v_fma_f64 v[4:5], v[70:71], 2.0, -v[0:1]
	v_fma_f64 v[6:7], v[104:105], 2.0, -v[2:3]
	v_lshlrev_b64 v[10:11], 4, v[10:11]
	v_add_co_u32 v8, vcc_lo, v86, v8
	v_add_co_ci_u32_e32 v9, vcc_lo, v87, v9, vcc_lo
	v_add_co_u32 v10, vcc_lo, v86, v10
	v_add_co_ci_u32_e32 v11, vcc_lo, v87, v11, vcc_lo
	global_store_dwordx4 v[8:9], v[4:7], off
	global_store_dwordx4 v[10:11], v[0:3], off
.LBB0_27:
	s_endpgm
	.section	.rodata,"a",@progbits
	.p2align	6, 0x0
	.amdhsa_kernel fft_rtc_back_len1156_factors_17_2_17_2_wgs_204_tpt_68_halfLds_dp_op_CI_CI_sbrr_dirReg
		.amdhsa_group_segment_fixed_size 0
		.amdhsa_private_segment_fixed_size 0
		.amdhsa_kernarg_size 104
		.amdhsa_user_sgpr_count 6
		.amdhsa_user_sgpr_private_segment_buffer 1
		.amdhsa_user_sgpr_dispatch_ptr 0
		.amdhsa_user_sgpr_queue_ptr 0
		.amdhsa_user_sgpr_kernarg_segment_ptr 1
		.amdhsa_user_sgpr_dispatch_id 0
		.amdhsa_user_sgpr_flat_scratch_init 0
		.amdhsa_user_sgpr_private_segment_size 0
		.amdhsa_wavefront_size32 1
		.amdhsa_uses_dynamic_stack 0
		.amdhsa_system_sgpr_private_segment_wavefront_offset 0
		.amdhsa_system_sgpr_workgroup_id_x 1
		.amdhsa_system_sgpr_workgroup_id_y 0
		.amdhsa_system_sgpr_workgroup_id_z 0
		.amdhsa_system_sgpr_workgroup_info 0
		.amdhsa_system_vgpr_workitem_id 0
		.amdhsa_next_free_vgpr 241
		.amdhsa_next_free_sgpr 60
		.amdhsa_reserve_vcc 1
		.amdhsa_reserve_flat_scratch 0
		.amdhsa_float_round_mode_32 0
		.amdhsa_float_round_mode_16_64 0
		.amdhsa_float_denorm_mode_32 3
		.amdhsa_float_denorm_mode_16_64 3
		.amdhsa_dx10_clamp 1
		.amdhsa_ieee_mode 1
		.amdhsa_fp16_overflow 0
		.amdhsa_workgroup_processor_mode 1
		.amdhsa_memory_ordered 1
		.amdhsa_forward_progress 0
		.amdhsa_shared_vgpr_count 0
		.amdhsa_exception_fp_ieee_invalid_op 0
		.amdhsa_exception_fp_denorm_src 0
		.amdhsa_exception_fp_ieee_div_zero 0
		.amdhsa_exception_fp_ieee_overflow 0
		.amdhsa_exception_fp_ieee_underflow 0
		.amdhsa_exception_fp_ieee_inexact 0
		.amdhsa_exception_int_div_zero 0
	.end_amdhsa_kernel
	.text
.Lfunc_end0:
	.size	fft_rtc_back_len1156_factors_17_2_17_2_wgs_204_tpt_68_halfLds_dp_op_CI_CI_sbrr_dirReg, .Lfunc_end0-fft_rtc_back_len1156_factors_17_2_17_2_wgs_204_tpt_68_halfLds_dp_op_CI_CI_sbrr_dirReg
                                        ; -- End function
	.section	.AMDGPU.csdata,"",@progbits
; Kernel info:
; codeLenInByte = 20832
; NumSgprs: 62
; NumVgprs: 241
; ScratchSize: 0
; MemoryBound: 1
; FloatMode: 240
; IeeeMode: 1
; LDSByteSize: 0 bytes/workgroup (compile time only)
; SGPRBlocks: 7
; VGPRBlocks: 30
; NumSGPRsForWavesPerEU: 62
; NumVGPRsForWavesPerEU: 241
; Occupancy: 4
; WaveLimiterHint : 1
; COMPUTE_PGM_RSRC2:SCRATCH_EN: 0
; COMPUTE_PGM_RSRC2:USER_SGPR: 6
; COMPUTE_PGM_RSRC2:TRAP_HANDLER: 0
; COMPUTE_PGM_RSRC2:TGID_X_EN: 1
; COMPUTE_PGM_RSRC2:TGID_Y_EN: 0
; COMPUTE_PGM_RSRC2:TGID_Z_EN: 0
; COMPUTE_PGM_RSRC2:TIDIG_COMP_CNT: 0
	.text
	.p2alignl 6, 3214868480
	.fill 48, 4, 3214868480
	.type	__hip_cuid_fb71892c3e270ff8,@object ; @__hip_cuid_fb71892c3e270ff8
	.section	.bss,"aw",@nobits
	.globl	__hip_cuid_fb71892c3e270ff8
__hip_cuid_fb71892c3e270ff8:
	.byte	0                               ; 0x0
	.size	__hip_cuid_fb71892c3e270ff8, 1

	.ident	"AMD clang version 19.0.0git (https://github.com/RadeonOpenCompute/llvm-project roc-6.4.0 25133 c7fe45cf4b819c5991fe208aaa96edf142730f1d)"
	.section	".note.GNU-stack","",@progbits
	.addrsig
	.addrsig_sym __hip_cuid_fb71892c3e270ff8
	.amdgpu_metadata
---
amdhsa.kernels:
  - .args:
      - .actual_access:  read_only
        .address_space:  global
        .offset:         0
        .size:           8
        .value_kind:     global_buffer
      - .offset:         8
        .size:           8
        .value_kind:     by_value
      - .actual_access:  read_only
        .address_space:  global
        .offset:         16
        .size:           8
        .value_kind:     global_buffer
      - .actual_access:  read_only
        .address_space:  global
        .offset:         24
        .size:           8
        .value_kind:     global_buffer
      - .actual_access:  read_only
        .address_space:  global
        .offset:         32
        .size:           8
        .value_kind:     global_buffer
      - .offset:         40
        .size:           8
        .value_kind:     by_value
      - .actual_access:  read_only
        .address_space:  global
        .offset:         48
        .size:           8
        .value_kind:     global_buffer
      - .actual_access:  read_only
        .address_space:  global
        .offset:         56
        .size:           8
        .value_kind:     global_buffer
      - .offset:         64
        .size:           4
        .value_kind:     by_value
      - .actual_access:  read_only
        .address_space:  global
        .offset:         72
        .size:           8
        .value_kind:     global_buffer
      - .actual_access:  read_only
        .address_space:  global
        .offset:         80
        .size:           8
        .value_kind:     global_buffer
      - .actual_access:  read_only
        .address_space:  global
        .offset:         88
        .size:           8
        .value_kind:     global_buffer
      - .actual_access:  write_only
        .address_space:  global
        .offset:         96
        .size:           8
        .value_kind:     global_buffer
    .group_segment_fixed_size: 0
    .kernarg_segment_align: 8
    .kernarg_segment_size: 104
    .language:       OpenCL C
    .language_version:
      - 2
      - 0
    .max_flat_workgroup_size: 204
    .name:           fft_rtc_back_len1156_factors_17_2_17_2_wgs_204_tpt_68_halfLds_dp_op_CI_CI_sbrr_dirReg
    .private_segment_fixed_size: 0
    .sgpr_count:     62
    .sgpr_spill_count: 0
    .symbol:         fft_rtc_back_len1156_factors_17_2_17_2_wgs_204_tpt_68_halfLds_dp_op_CI_CI_sbrr_dirReg.kd
    .uniform_work_group_size: 1
    .uses_dynamic_stack: false
    .vgpr_count:     241
    .vgpr_spill_count: 0
    .wavefront_size: 32
    .workgroup_processor_mode: 1
amdhsa.target:   amdgcn-amd-amdhsa--gfx1030
amdhsa.version:
  - 1
  - 2
...

	.end_amdgpu_metadata
